;; amdgpu-corpus repo=ROCm/rocFFT kind=compiled arch=gfx1100 opt=O3
	.text
	.amdgcn_target "amdgcn-amd-amdhsa--gfx1100"
	.amdhsa_code_object_version 6
	.protected	bluestein_single_fwd_len680_dim1_dp_op_CI_CI ; -- Begin function bluestein_single_fwd_len680_dim1_dp_op_CI_CI
	.globl	bluestein_single_fwd_len680_dim1_dp_op_CI_CI
	.p2align	8
	.type	bluestein_single_fwd_len680_dim1_dp_op_CI_CI,@function
bluestein_single_fwd_len680_dim1_dp_op_CI_CI: ; @bluestein_single_fwd_len680_dim1_dp_op_CI_CI
; %bb.0:
	s_load_b128 s[8:11], s[0:1], 0x28
	v_mul_u32_u24_e32 v1, 0x3c4, v0
	s_mov_b32 s2, exec_lo
	s_delay_alu instid0(VALU_DEP_1) | instskip(NEXT) | instid1(VALU_DEP_1)
	v_lshrrev_b32_e32 v1, 16, v1
	v_mad_u64_u32 v[160:161], null, s15, 3, v[1:2]
	v_mov_b32_e32 v161, 0
                                        ; kill: def $vgpr2 killed $sgpr0 killed $exec
	s_waitcnt lgkmcnt(0)
	s_delay_alu instid0(VALU_DEP_1)
	v_cmpx_gt_u64_e64 s[8:9], v[160:161]
	s_cbranch_execz .LBB0_23
; %bb.1:
	v_mul_hi_u32 v2, 0xaaaaaaab, v160
	v_mul_lo_u16 v1, 0x44, v1
	s_clause 0x1
	s_load_b64 s[8:9], s[0:1], 0x0
	s_load_b64 s[12:13], s[0:1], 0x38
	s_delay_alu instid0(VALU_DEP_1) | instskip(NEXT) | instid1(VALU_DEP_3)
	v_sub_nc_u16 v0, v0, v1
	v_lshrrev_b32_e32 v2, 1, v2
	s_delay_alu instid0(VALU_DEP_2) | instskip(SKIP_1) | instid1(VALU_DEP_3)
	v_and_b32_e32 v183, 0xffff, v0
	v_cmp_gt_u16_e32 vcc_lo, 40, v0
	v_lshl_add_u32 v2, v2, 1, v2
	s_delay_alu instid0(VALU_DEP_3) | instskip(NEXT) | instid1(VALU_DEP_2)
	v_or_b32_e32 v0, 0x140, v183
	v_sub_nc_u32_e32 v1, v160, v2
	scratch_store_b32 off, v0, off offset:28 ; 4-byte Folded Spill
	v_mul_u32_u24_e32 v235, 0x2a8, v1
	s_delay_alu instid0(VALU_DEP_1)
	v_lshlrev_b32_e32 v0, 4, v235
	scratch_store_b32 off, v0, off          ; 4-byte Folded Spill
	v_or_b32_e32 v0, 0x280, v183
	scratch_store_b32 off, v0, off offset:24 ; 4-byte Folded Spill
	s_and_saveexec_b32 s3, vcc_lo
	s_cbranch_execz .LBB0_3
; %bb.2:
	s_load_b64 s[4:5], s[0:1], 0x18
	v_or_b32_e32 v44, 0x140, v183
	v_or_b32_e32 v48, 0x280, v183
	s_waitcnt lgkmcnt(0)
	s_load_b128 s[4:7], s[4:5], 0x0
	s_waitcnt lgkmcnt(0)
	v_mad_u64_u32 v[38:39], null, s6, v160, 0
	v_mad_u64_u32 v[40:41], null, s4, v183, 0
	v_lshlrev_b32_e32 v181, 4, v183
	v_lshlrev_b32_e32 v30, 4, v44
	s_mul_i32 s6, s5, 0x280
	s_mul_i32 s14, s4, 0x280
	s_delay_alu instid0(VALU_DEP_4) | instskip(SKIP_3) | instid1(VALU_DEP_3)
	v_mov_b32_e32 v34, v39
	v_add_co_u32 v24, s2, s8, v181
	v_mov_b32_e32 v35, v41
	v_add_co_ci_u32_e64 v25, null, s9, 0, s2
	v_add_co_u32 v54, s2, 0x1000, v24
	s_delay_alu instid0(VALU_DEP_3) | instskip(SKIP_1) | instid1(VALU_DEP_4)
	v_mad_u64_u32 v[41:42], null, s7, v160, v[34:35]
	v_lshlrev_b32_e32 v36, 4, v48
	v_add_co_ci_u32_e64 v55, s2, 0, v25, s2
	v_add_co_u32 v24, s2, 0x2000, v24
	s_delay_alu instid0(VALU_DEP_1) | instskip(SKIP_4) | instid1(VALU_DEP_3)
	v_add_co_ci_u32_e64 v25, s2, 0, v25, s2
	v_mov_b32_e32 v39, v41
	v_mad_u64_u32 v[42:43], null, s5, v183, v[35:36]
	s_mul_hi_u32 s7, s4, 0x280
	v_mad_u64_u32 v[46:47], null, s4, v48, 0
	v_lshlrev_b64 v[38:39], 4, v[38:39]
	s_add_i32 s7, s7, s6
	s_clause 0x3
	global_load_b128 v[0:3], v181, s[8:9]
	global_load_b128 v[4:7], v181, s[8:9] offset:640
	global_load_b128 v[8:11], v181, s[8:9] offset:1280
	;; [unrolled: 1-line block ×3, first 2 shown]
	v_mov_b32_e32 v41, v42
	v_mad_u64_u32 v[42:43], null, s4, v44, 0
	v_add_co_u32 v50, s2, s10, v38
	s_delay_alu instid0(VALU_DEP_1)
	v_add_co_ci_u32_e64 v51, s2, s11, v39, s2
	v_mov_b32_e32 v39, v47
	s_clause 0x2
	global_load_b128 v[16:19], v181, s[8:9] offset:2560
	global_load_b128 v[20:23], v181, s[8:9] offset:3200
	;; [unrolled: 1-line block ×3, first 2 shown]
	v_mov_b32_e32 v38, v43
	v_lshlrev_b64 v[40:41], 4, v[40:41]
	s_clause 0x1
	global_load_b128 v[30:33], v30, s[8:9]
	global_load_b128 v[34:37], v36, s[8:9]
	v_add_co_u32 v66, s2, v50, v40
	s_delay_alu instid0(VALU_DEP_1) | instskip(SKIP_1) | instid1(VALU_DEP_3)
	v_add_co_ci_u32_e64 v67, s2, v51, v41, s2
	v_mad_u64_u32 v[40:41], null, s5, v44, v[38:39]
	v_add_co_u32 v70, s2, v66, s14
	s_delay_alu instid0(VALU_DEP_1) | instskip(NEXT) | instid1(VALU_DEP_2)
	v_add_co_ci_u32_e64 v71, s2, s7, v67, s2
	v_add_co_u32 v74, s2, v70, s14
	s_delay_alu instid0(VALU_DEP_1) | instskip(SKIP_1) | instid1(VALU_DEP_3)
	v_add_co_ci_u32_e64 v75, s2, s7, v71, s2
	v_mad_u64_u32 v[44:45], null, s5, v48, v[39:40]
	v_add_co_u32 v78, s2, v74, s14
	s_delay_alu instid0(VALU_DEP_1) | instskip(NEXT) | instid1(VALU_DEP_2)
	v_add_co_ci_u32_e64 v79, s2, s7, v75, s2
	v_add_co_u32 v82, s2, v78, s14
	s_delay_alu instid0(VALU_DEP_1) | instskip(SKIP_1) | instid1(VALU_DEP_3)
	v_add_co_ci_u32_e64 v83, s2, s7, v79, s2
	v_mov_b32_e32 v47, v44
	v_add_co_u32 v86, s2, v82, s14
	s_delay_alu instid0(VALU_DEP_1) | instskip(NEXT) | instid1(VALU_DEP_3)
	v_add_co_ci_u32_e64 v87, s2, s7, v83, s2
	v_lshlrev_b64 v[46:47], 4, v[46:47]
	s_delay_alu instid0(VALU_DEP_3) | instskip(NEXT) | instid1(VALU_DEP_1)
	v_add_co_u32 v90, s2, v86, s14
	v_add_co_ci_u32_e64 v91, s2, s7, v87, s2
	s_delay_alu instid0(VALU_DEP_2) | instskip(NEXT) | instid1(VALU_DEP_1)
	v_add_co_u32 v94, s2, v90, s14
	v_add_co_ci_u32_e64 v95, s2, s7, v91, s2
	s_delay_alu instid0(VALU_DEP_1) | instskip(NEXT) | instid1(VALU_DEP_1)
	v_mad_u64_u32 v[98:99], null, 0x500, s4, v[94:95]
	v_dual_mov_b32 v43, v40 :: v_dual_mov_b32 v68, v99
	s_delay_alu instid0(VALU_DEP_1)
	v_lshlrev_b64 v[48:49], 4, v[42:43]
	s_clause 0x1
	global_load_b128 v[38:41], v[54:55], off offset:384
	global_load_b128 v[42:45], v[54:55], off offset:1664
	v_mad_u64_u32 v[96:97], null, 0x500, s5, v[68:69]
	v_add_co_u32 v58, s2, v50, v48
	s_delay_alu instid0(VALU_DEP_1) | instskip(SKIP_1) | instid1(VALU_DEP_4)
	v_add_co_ci_u32_e64 v59, s2, v51, v49, s2
	v_add_co_u32 v62, s2, v50, v46
	v_mov_b32_e32 v99, v96
	v_add_co_ci_u32_e64 v63, s2, v51, v47, s2
	v_add_co_u32 v102, s2, v98, s14
	s_delay_alu instid0(VALU_DEP_1) | instskip(SKIP_4) | instid1(VALU_DEP_1)
	v_add_co_ci_u32_e64 v103, s2, s7, v99, s2
	s_clause 0x1
	global_load_b128 v[46:49], v[54:55], off offset:2304
	global_load_b128 v[50:53], v[54:55], off offset:2944
	v_add_co_u32 v106, s2, v102, s14
	v_add_co_ci_u32_e64 v107, s2, s7, v103, s2
	global_load_b128 v[54:57], v[54:55], off offset:3584
	s_clause 0x1
	global_load_b128 v[58:61], v[58:59], off
	global_load_b128 v[62:65], v[62:63], off
	v_add_co_u32 v110, s2, v106, s14
	s_delay_alu instid0(VALU_DEP_1)
	v_add_co_ci_u32_e64 v111, s2, s7, v107, s2
	s_clause 0x4
	global_load_b128 v[66:69], v[66:67], off
	global_load_b128 v[70:73], v[70:71], off
	;; [unrolled: 1-line block ×7, first 2 shown]
	v_add_co_u32 v114, s2, v110, s14
	s_delay_alu instid0(VALU_DEP_1)
	v_add_co_ci_u32_e64 v115, s2, s7, v111, s2
	global_load_b128 v[94:97], v[94:95], off
	v_add_co_u32 v126, s2, v114, s14
	global_load_b128 v[98:101], v[98:99], off
	v_add_co_ci_u32_e64 v127, s2, s7, v115, s2
	global_load_b128 v[102:105], v[102:103], off
	global_load_b128 v[106:109], v[106:107], off
	global_load_b128 v[110:113], v[110:111], off
	v_add_co_u32 v134, s2, v126, s14
	global_load_b128 v[114:117], v[114:115], off
	v_add_co_ci_u32_e64 v135, s2, s7, v127, s2
	s_clause 0x1
	global_load_b128 v[118:121], v[24:25], off offset:128
	global_load_b128 v[122:125], v[24:25], off offset:768
	global_load_b128 v[126:129], v[126:127], off
	global_load_b128 v[130:133], v[24:25], off offset:1408
	global_load_b128 v[134:137], v[134:135], off
	s_waitcnt vmcnt(17)
	v_mul_f64 v[24:25], v[68:69], v[2:3]
	v_mul_f64 v[2:3], v[66:67], v[2:3]
	;; [unrolled: 1-line block ×4, first 2 shown]
	s_waitcnt vmcnt(16)
	v_mul_f64 v[142:143], v[72:73], v[6:7]
	v_mul_f64 v[144:145], v[70:71], v[6:7]
	s_waitcnt vmcnt(15)
	v_mul_f64 v[146:147], v[76:77], v[10:11]
	v_mul_f64 v[10:11], v[74:75], v[10:11]
	;; [unrolled: 3-line block ×5, first 2 shown]
	v_mul_f64 v[140:141], v[64:65], v[36:37]
	s_waitcnt vmcnt(11)
	v_mul_f64 v[156:157], v[92:93], v[28:29]
	v_mul_f64 v[158:159], v[90:91], v[28:29]
	s_waitcnt vmcnt(10)
	v_mul_f64 v[161:162], v[96:97], v[40:41]
	;; [unrolled: 3-line block ×9, first 2 shown]
	v_mul_f64 v[132:133], v[134:135], v[132:133]
	v_mul_f64 v[179:180], v[62:63], v[36:37]
	v_fma_f64 v[22:23], v[66:67], v[0:1], v[24:25]
	v_fma_f64 v[24:25], v[68:69], v[0:1], -v[2:3]
	v_fma_f64 v[0:1], v[58:59], v[30:31], v[138:139]
	v_fma_f64 v[2:3], v[60:61], v[30:31], -v[32:33]
	;; [unrolled: 2-line block ×7, first 2 shown]
	v_fma_f64 v[6:7], v[62:63], v[34:35], v[140:141]
	v_fma_f64 v[60:61], v[90:91], v[26:27], v[156:157]
	v_fma_f64 v[62:63], v[92:93], v[26:27], -v[158:159]
	v_fma_f64 v[36:37], v[94:95], v[38:39], v[161:162]
	v_fma_f64 v[38:39], v[96:97], v[38:39], -v[40:41]
	;; [unrolled: 2-line block ×9, first 2 shown]
	v_fma_f64 v[8:9], v[64:65], v[34:35], -v[179:180]
	v_lshlrev_b32_e32 v5, 4, v235
	s_delay_alu instid0(VALU_DEP_1)
	v_lshl_add_u32 v4, v183, 4, v5
	v_add_nc_u32_e32 v5, v5, v181
	ds_store_b128 v4, v[22:25]
	ds_store_b128 v5, v[28:31] offset:640
	ds_store_b128 v5, v[56:59] offset:1280
	;; [unrolled: 1-line block ×16, first 2 shown]
.LBB0_3:
	s_or_b32 exec_lo, exec_lo, s3
	s_waitcnt lgkmcnt(0)
	s_waitcnt_vscnt null, 0x0
	s_barrier
	buffer_gl0_inv
                                        ; implicit-def: $vgpr20_vgpr21
                                        ; implicit-def: $vgpr40_vgpr41
                                        ; implicit-def: $vgpr44_vgpr45
                                        ; implicit-def: $vgpr56_vgpr57
                                        ; implicit-def: $vgpr72_vgpr73
                                        ; implicit-def: $vgpr80_vgpr81
                                        ; implicit-def: $vgpr64_vgpr65
                                        ; implicit-def: $vgpr36_vgpr37
                                        ; implicit-def: $vgpr32_vgpr33
                                        ; implicit-def: $vgpr28_vgpr29
                                        ; implicit-def: $vgpr24_vgpr25
                                        ; implicit-def: $vgpr84_vgpr85
                                        ; implicit-def: $vgpr76_vgpr77
                                        ; implicit-def: $vgpr68_vgpr69
                                        ; implicit-def: $vgpr60_vgpr61
                                        ; implicit-def: $vgpr52_vgpr53
                                        ; implicit-def: $vgpr48_vgpr49
	s_and_saveexec_b32 s2, vcc_lo
	s_cbranch_execz .LBB0_5
; %bb.4:
	v_lshlrev_b32_e32 v0, 4, v183
	s_delay_alu instid0(VALU_DEP_1)
	v_lshl_add_u32 v0, v235, 4, v0
	ds_load_b128 v[20:23], v0
	ds_load_b128 v[48:51], v0 offset:640
	ds_load_b128 v[52:55], v0 offset:1280
	;; [unrolled: 1-line block ×16, first 2 shown]
.LBB0_5:
	s_or_b32 exec_lo, exec_lo, s2
	s_waitcnt lgkmcnt(0)
	v_add_f64 v[2:3], v[50:51], -v[26:27]
	s_mov_b32 s40, 0x5d8e7cdc
	s_mov_b32 s41, 0xbfd71e95
	v_add_f64 v[108:109], v[24:25], v[48:49]
	v_add_f64 v[0:1], v[48:49], -v[24:25]
	v_add_f64 v[114:115], v[54:55], -v[30:31]
	s_mov_b32 s4, 0x370991
	s_mov_b32 s46, 0x2a9d6da3
	;; [unrolled: 1-line block ×4, first 2 shown]
	v_add_f64 v[110:111], v[26:27], v[50:51]
	v_add_f64 v[104:105], v[28:29], v[52:53]
	v_add_f64 v[112:113], v[52:53], -v[28:29]
	s_mov_b32 s6, 0x75d4884
	s_mov_b32 s7, 0x3fe7a5f6
	v_add_f64 v[106:107], v[30:31], v[54:55]
	s_mov_b32 s42, 0xeb564b22
	s_mov_b32 s30, 0x4363dd80
	;; [unrolled: 1-line block ×22, first 2 shown]
	v_mul_f64 v[4:5], v[2:3], s[40:41]
	v_mul_f64 v[8:9], v[2:3], s[46:47]
	;; [unrolled: 1-line block ×13, first 2 shown]
	s_mov_b32 s51, 0x3fe0d888
	s_mov_b32 s50, s30
	v_mul_f64 v[90:91], v[0:1], s[24:25]
	s_mov_b32 s20, 0x910ea3b9
	s_mov_b32 s21, 0xbfeb34fa
	v_mul_f64 v[92:93], v[2:3], s[26:27]
	;; [unrolled: 3-line block ×5, first 2 shown]
	v_add_f64 v[144:145], v[40:41], v[32:33]
	v_add_f64 v[148:149], v[42:43], v[34:35]
	s_mov_b32 s39, 0x3fc7851a
	s_mov_b32 s38, s34
	v_add_f64 v[177:178], v[44:45], v[36:37]
	v_add_f64 v[181:182], v[46:47], v[38:39]
	s_mov_b32 s53, 0x3fe9895b
	s_mov_b32 s52, s26
	v_add_f64 v[120:121], v[62:63], -v[66:67]
	v_add_f64 v[209:210], v[64:65], v[60:61]
	scratch_store_b64 off, v[4:5], off offset:8 ; 8-byte Folded Spill
	v_fma_f64 v[4:5], v[108:109], s[4:5], v[4:5]
	scratch_store_b64 off, v[8:9], off offset:32 ; 8-byte Folded Spill
	v_fma_f64 v[8:9], v[108:109], s[6:7], v[8:9]
	scratch_store_b64 off, v[6:7], off offset:16 ; 8-byte Folded Spill
	v_fma_f64 v[6:7], v[110:111], s[4:5], -v[6:7]
	scratch_store_b64 off, v[116:117], off offset:112 ; 8-byte Folded Spill
	v_fma_f64 v[116:117], v[104:105], s[6:7], v[116:117]
	scratch_store_b64 off, v[10:11], off offset:40 ; 8-byte Folded Spill
	v_fma_f64 v[10:11], v[110:111], s[6:7], -v[10:11]
	s_clause 0x6
	scratch_store_b64 off, v[96:97], off offset:128
	scratch_store_b64 off, v[98:99], off offset:136
	;; [unrolled: 1-line block ×7, first 2 shown]
	v_fma_f64 v[12:13], v[108:109], s[10:11], v[12:13]
	v_fma_f64 v[14:15], v[110:111], s[10:11], -v[14:15]
	v_fma_f64 v[16:17], v[108:109], s[14:15], v[16:17]
	v_fma_f64 v[18:19], v[110:111], s[14:15], -v[18:19]
	s_clause 0x3
	scratch_store_b64 off, v[88:89], off offset:80
	scratch_store_b64 off, v[90:91], off offset:88
	;; [unrolled: 1-line block ×4, first 2 shown]
	v_fma_f64 v[88:89], v[108:109], s[16:17], v[88:89]
	v_fma_f64 v[90:91], v[110:111], s[16:17], -v[90:91]
	v_fma_f64 v[92:93], v[108:109], s[18:19], v[92:93]
	v_fma_f64 v[94:95], v[110:111], s[18:19], -v[94:95]
	;; [unrolled: 2-line block ×3, first 2 shown]
	v_fma_f64 v[100:101], v[108:109], s[22:23], -v[2:3]
	v_fma_f64 v[2:3], v[108:109], s[22:23], v[2:3]
	v_fma_f64 v[102:103], v[110:111], s[22:23], v[0:1]
	v_fma_f64 v[0:1], v[110:111], s[22:23], -v[0:1]
	v_add_f64 v[211:212], v[66:67], v[62:63]
	v_mul_f64 v[249:250], v[120:121], s[36:37]
	v_mul_f64 v[245:246], v[120:121], s[34:35]
	;; [unrolled: 1-line block ×3, first 2 shown]
	v_add_f64 v[4:5], v[20:21], v[4:5]
	v_add_f64 v[128:129], v[70:71], -v[82:83]
	v_add_f64 v[8:9], v[20:21], v[8:9]
	v_add_f64 v[239:240], v[80:81], v[68:69]
	;; [unrolled: 1-line block ×4, first 2 shown]
	v_add_f64 v[165:166], v[58:59], -v[86:87]
	v_add_f64 v[163:164], v[56:57], -v[84:85]
	v_add_f64 v[10:11], v[22:23], v[10:11]
	v_mov_b32_e32 v238, v183
	v_add_f64 v[233:234], v[74:75], -v[78:79]
	v_add_f64 v[227:228], v[72:73], -v[76:77]
	s_load_b64 s[2:3], s[0:1], 0x20
	v_add_f64 v[12:13], v[20:21], v[12:13]
	v_add_f64 v[14:15], v[22:23], v[14:15]
	v_add_f64 v[16:17], v[20:21], v[16:17]
	v_add_f64 v[18:19], v[22:23], v[18:19]
	v_add_f64 v[88:89], v[20:21], v[88:89]
	v_add_f64 v[90:91], v[22:23], v[90:91]
	v_add_f64 v[92:93], v[20:21], v[92:93]
	v_add_f64 v[94:95], v[22:23], v[94:95]
	v_add_f64 v[96:97], v[20:21], v[96:97]
	v_add_f64 v[98:99], v[22:23], v[98:99]
	v_add_f64 v[100:101], v[20:21], v[100:101]
	v_add_f64 v[2:3], v[20:21], v[2:3]
	v_add_f64 v[102:103], v[22:23], v[102:103]
	v_add_f64 v[0:1], v[22:23], v[0:1]
	v_add_f64 v[4:5], v[116:117], v[4:5]
	v_fma_f64 v[116:117], v[106:107], s[6:7], -v[118:119]
	v_mul_f64 v[118:119], v[112:113], s[42:43]
	v_mul_f64 v[150:151], v[128:129], s[48:49]
	;; [unrolled: 1-line block ×23, first 2 shown]
	v_add_f64 v[6:7], v[116:117], v[6:7]
	v_mul_f64 v[116:117], v[114:115], s[42:43]
	s_clause 0x1
	scratch_store_b64 off, v[118:119], off offset:200
	scratch_store_b64 off, v[116:117], off offset:192
	v_fma_f64 v[116:117], v[104:105], s[14:15], v[116:117]
	s_delay_alu instid0(VALU_DEP_1) | instskip(SKIP_2) | instid1(VALU_DEP_2)
	v_add_f64 v[8:9], v[116:117], v[8:9]
	v_fma_f64 v[116:117], v[106:107], s[14:15], -v[118:119]
	v_mul_f64 v[118:119], v[112:113], s[26:27]
	v_add_f64 v[10:11], v[116:117], v[10:11]
	v_mul_f64 v[116:117], v[114:115], s[26:27]
	s_clause 0x1
	scratch_store_b64 off, v[118:119], off offset:184
	scratch_store_b64 off, v[116:117], off offset:176
	v_fma_f64 v[116:117], v[104:105], s[18:19], v[116:117]
	s_delay_alu instid0(VALU_DEP_1) | instskip(SKIP_2) | instid1(VALU_DEP_2)
	v_add_f64 v[12:13], v[116:117], v[12:13]
	v_fma_f64 v[116:117], v[106:107], s[18:19], -v[118:119]
	v_mul_f64 v[118:119], v[112:113], s[34:35]
	;; [unrolled: 10-line block ×3, first 2 shown]
	v_add_f64 v[18:19], v[116:117], v[18:19]
	v_mul_f64 v[116:117], v[114:115], s[50:51]
	scratch_store_b64 off, v[116:117], off offset:144 ; 8-byte Folded Spill
	v_fma_f64 v[116:117], v[104:105], s[20:21], v[116:117]
	s_delay_alu instid0(VALU_DEP_1) | instskip(SKIP_1) | instid1(VALU_DEP_1)
	v_add_f64 v[88:89], v[116:117], v[88:89]
	v_fma_f64 v[116:117], v[106:107], s[20:21], -v[118:119]
	v_add_f64 v[90:91], v[116:117], v[90:91]
	v_mul_f64 v[116:117], v[114:115], s[48:49]
	scratch_store_b64 off, v[118:119], off offset:152 ; 8-byte Folded Spill
	v_mul_f64 v[118:119], v[112:113], s[48:49]
	scratch_store_b64 off, v[116:117], off offset:208 ; 8-byte Folded Spill
	v_fma_f64 v[116:117], v[104:105], s[16:17], v[116:117]
	scratch_store_b64 off, v[118:119], off offset:216 ; 8-byte Folded Spill
	v_add_f64 v[92:93], v[116:117], v[92:93]
	v_fma_f64 v[116:117], v[106:107], s[16:17], -v[118:119]
	v_mul_f64 v[118:119], v[112:113], s[28:29]
	v_mul_f64 v[112:113], v[112:113], s[44:45]
	s_delay_alu instid0(VALU_DEP_3)
	v_add_f64 v[94:95], v[116:117], v[94:95]
	v_mul_f64 v[116:117], v[114:115], s[28:29]
	v_mul_f64 v[114:115], v[114:115], s[44:45]
	s_clause 0x1
	scratch_store_b64 off, v[118:119], off offset:248
	scratch_store_b64 off, v[116:117], off offset:240
	v_fma_f64 v[116:117], v[104:105], s[10:11], v[116:117]
	s_delay_alu instid0(VALU_DEP_1) | instskip(SKIP_1) | instid1(VALU_DEP_1)
	v_add_f64 v[96:97], v[116:117], v[96:97]
	v_fma_f64 v[116:117], v[106:107], s[10:11], -v[118:119]
	v_add_f64 v[98:99], v[116:117], v[98:99]
	v_fma_f64 v[116:117], v[104:105], s[4:5], -v[114:115]
	v_fma_f64 v[114:115], v[104:105], s[4:5], v[114:115]
	s_delay_alu instid0(VALU_DEP_2) | instskip(SKIP_1) | instid1(VALU_DEP_3)
	v_add_f64 v[100:101], v[116:117], v[100:101]
	v_fma_f64 v[116:117], v[106:107], s[4:5], v[112:113]
	v_add_f64 v[2:3], v[114:115], v[2:3]
	v_fma_f64 v[112:113], v[106:107], s[4:5], -v[112:113]
	v_add_f64 v[114:115], v[42:43], -v[34:35]
	s_delay_alu instid0(VALU_DEP_4) | instskip(NEXT) | instid1(VALU_DEP_3)
	v_add_f64 v[102:103], v[116:117], v[102:103]
	v_add_f64 v[0:1], v[112:113], v[0:1]
	v_add_f64 v[112:113], v[40:41], -v[32:33]
	s_delay_alu instid0(VALU_DEP_4) | instskip(NEXT) | instid1(VALU_DEP_2)
	v_mul_f64 v[116:117], v[114:115], s[36:37]
	v_mul_f64 v[118:119], v[112:113], s[36:37]
	scratch_store_b64 off, v[116:117], off offset:224 ; 8-byte Folded Spill
	v_fma_f64 v[116:117], v[144:145], s[10:11], v[116:117]
	s_delay_alu instid0(VALU_DEP_1) | instskip(SKIP_1) | instid1(VALU_DEP_1)
	v_add_f64 v[4:5], v[116:117], v[4:5]
	v_fma_f64 v[116:117], v[148:149], s[10:11], -v[118:119]
	v_add_f64 v[6:7], v[116:117], v[6:7]
	v_mul_f64 v[116:117], v[114:115], s[26:27]
	scratch_store_b64 off, v[118:119], off offset:232 ; 8-byte Folded Spill
	v_mul_f64 v[118:119], v[112:113], s[26:27]
	scratch_store_b64 off, v[116:117], off offset:304 ; 8-byte Folded Spill
	v_fma_f64 v[116:117], v[144:145], s[18:19], v[116:117]
	scratch_store_b64 off, v[118:119], off offset:312 ; 8-byte Folded Spill
	v_add_f64 v[8:9], v[116:117], v[8:9]
	v_fma_f64 v[116:117], v[148:149], s[18:19], -v[118:119]
	v_mul_f64 v[118:119], v[112:113], s[38:39]
	s_delay_alu instid0(VALU_DEP_2)
	v_add_f64 v[10:11], v[116:117], v[10:11]
	v_mul_f64 v[116:117], v[114:115], s[38:39]
	s_mov_b32 s39, 0x3fe58eea
	s_mov_b32 s38, s46
	scratch_store_b64 off, v[118:119], off offset:296 ; 8-byte Folded Spill
	v_mul_f64 v[253:254], v[120:121], s[38:39]
	v_mul_f64 v[199:200], v[165:166], s[38:39]
	;; [unrolled: 1-line block ×5, first 2 shown]
	scratch_store_b64 off, v[116:117], off offset:288 ; 8-byte Folded Spill
	v_fma_f64 v[116:117], v[144:145], s[22:23], v[116:117]
	v_fma_f64 v[122:123], v[209:210], s[6:7], v[253:254]
	s_delay_alu instid0(VALU_DEP_2) | instskip(SKIP_2) | instid1(VALU_DEP_2)
	v_add_f64 v[12:13], v[116:117], v[12:13]
	v_fma_f64 v[116:117], v[148:149], s[22:23], -v[118:119]
	v_mul_f64 v[118:119], v[112:113], s[48:49]
	v_add_f64 v[14:15], v[116:117], v[14:15]
	v_mul_f64 v[116:117], v[114:115], s[48:49]
	s_clause 0x1
	scratch_store_b64 off, v[118:119], off offset:280
	scratch_store_b64 off, v[116:117], off offset:272
	v_fma_f64 v[116:117], v[144:145], s[16:17], v[116:117]
	s_delay_alu instid0(VALU_DEP_1) | instskip(SKIP_2) | instid1(VALU_DEP_2)
	v_add_f64 v[16:17], v[116:117], v[16:17]
	v_fma_f64 v[116:117], v[148:149], s[16:17], -v[118:119]
	v_mul_f64 v[118:119], v[112:113], s[38:39]
	v_add_f64 v[18:19], v[116:117], v[18:19]
	v_mul_f64 v[116:117], v[114:115], s[38:39]
	scratch_store_b64 off, v[116:117], off offset:256 ; 8-byte Folded Spill
	v_fma_f64 v[116:117], v[144:145], s[6:7], v[116:117]
	s_delay_alu instid0(VALU_DEP_1) | instskip(SKIP_1) | instid1(VALU_DEP_1)
	v_add_f64 v[88:89], v[116:117], v[88:89]
	v_fma_f64 v[116:117], v[148:149], s[6:7], -v[118:119]
	v_add_f64 v[90:91], v[116:117], v[90:91]
	v_mul_f64 v[116:117], v[114:115], s[40:41]
	scratch_store_b64 off, v[118:119], off offset:264 ; 8-byte Folded Spill
	v_mul_f64 v[118:119], v[112:113], s[40:41]
	scratch_store_b64 off, v[116:117], off offset:328 ; 8-byte Folded Spill
	v_fma_f64 v[116:117], v[144:145], s[4:5], v[116:117]
	scratch_store_b64 off, v[118:119], off offset:336 ; 8-byte Folded Spill
	v_add_f64 v[92:93], v[116:117], v[92:93]
	v_fma_f64 v[116:117], v[148:149], s[4:5], -v[118:119]
	v_mul_f64 v[118:119], v[112:113], s[42:43]
	v_mul_f64 v[112:113], v[112:113], s[30:31]
	s_delay_alu instid0(VALU_DEP_3)
	v_add_f64 v[94:95], v[116:117], v[94:95]
	v_mul_f64 v[116:117], v[114:115], s[42:43]
	v_mul_f64 v[114:115], v[114:115], s[30:31]
	s_clause 0x1
	scratch_store_b64 off, v[118:119], off offset:360
	scratch_store_b64 off, v[116:117], off offset:352
	v_fma_f64 v[116:117], v[144:145], s[14:15], v[116:117]
	s_delay_alu instid0(VALU_DEP_1) | instskip(SKIP_1) | instid1(VALU_DEP_1)
	v_add_f64 v[96:97], v[116:117], v[96:97]
	v_fma_f64 v[116:117], v[148:149], s[14:15], -v[118:119]
	v_add_f64 v[98:99], v[116:117], v[98:99]
	v_fma_f64 v[116:117], v[144:145], s[20:21], -v[114:115]
	v_fma_f64 v[114:115], v[144:145], s[20:21], v[114:115]
	s_delay_alu instid0(VALU_DEP_2) | instskip(SKIP_1) | instid1(VALU_DEP_3)
	v_add_f64 v[100:101], v[116:117], v[100:101]
	v_fma_f64 v[116:117], v[148:149], s[20:21], v[112:113]
	v_add_f64 v[2:3], v[114:115], v[2:3]
	v_fma_f64 v[112:113], v[148:149], s[20:21], -v[112:113]
	v_add_f64 v[114:115], v[46:47], -v[38:39]
	s_delay_alu instid0(VALU_DEP_4) | instskip(NEXT) | instid1(VALU_DEP_3)
	v_add_f64 v[102:103], v[116:117], v[102:103]
	v_add_f64 v[0:1], v[112:113], v[0:1]
	v_add_f64 v[112:113], v[44:45], -v[36:37]
	s_delay_alu instid0(VALU_DEP_4) | instskip(NEXT) | instid1(VALU_DEP_2)
	v_mul_f64 v[116:117], v[114:115], s[42:43]
	v_mul_f64 v[118:119], v[112:113], s[42:43]
	scratch_store_b64 off, v[116:117], off offset:320 ; 8-byte Folded Spill
	v_fma_f64 v[116:117], v[177:178], s[14:15], v[116:117]
	v_mul_f64 v[243:244], v[112:113], s[52:53]
	s_delay_alu instid0(VALU_DEP_2) | instskip(SKIP_1) | instid1(VALU_DEP_1)
	v_add_f64 v[4:5], v[116:117], v[4:5]
	v_fma_f64 v[116:117], v[181:182], s[14:15], -v[118:119]
	v_add_f64 v[6:7], v[116:117], v[6:7]
	v_mul_f64 v[116:117], v[114:115], s[34:35]
	scratch_store_b64 off, v[118:119], off offset:344 ; 8-byte Folded Spill
	v_mul_f64 v[118:119], v[112:113], s[34:35]
	scratch_store_b64 off, v[116:117], off offset:416 ; 8-byte Folded Spill
	v_fma_f64 v[116:117], v[177:178], s[22:23], v[116:117]
	scratch_store_b64 off, v[118:119], off offset:424 ; 8-byte Folded Spill
	v_add_f64 v[8:9], v[116:117], v[8:9]
	v_fma_f64 v[116:117], v[181:182], s[22:23], -v[118:119]
	v_mul_f64 v[118:119], v[112:113], s[48:49]
	s_delay_alu instid0(VALU_DEP_2)
	v_add_f64 v[10:11], v[116:117], v[10:11]
	v_mul_f64 v[116:117], v[114:115], s[48:49]
	s_clause 0x1
	scratch_store_b64 off, v[118:119], off offset:408
	scratch_store_b64 off, v[116:117], off offset:400
	v_fma_f64 v[116:117], v[177:178], s[16:17], v[116:117]
	s_delay_alu instid0(VALU_DEP_1) | instskip(SKIP_2) | instid1(VALU_DEP_3)
	v_add_f64 v[12:13], v[116:117], v[12:13]
	v_fma_f64 v[116:117], v[181:182], s[16:17], -v[118:119]
	v_mul_f64 v[118:119], v[112:113], s[44:45]
	v_add_f64 v[12:13], v[122:123], v[12:13]
	s_delay_alu instid0(VALU_DEP_3)
	v_add_f64 v[14:15], v[116:117], v[14:15]
	v_mul_f64 v[116:117], v[114:115], s[44:45]
	s_clause 0x1
	scratch_store_b64 off, v[118:119], off offset:392
	scratch_store_b64 off, v[116:117], off offset:384
	v_fma_f64 v[116:117], v[177:178], s[4:5], v[116:117]
	s_delay_alu instid0(VALU_DEP_1) | instskip(SKIP_2) | instid1(VALU_DEP_2)
	v_add_f64 v[16:17], v[116:117], v[16:17]
	v_fma_f64 v[116:117], v[181:182], s[4:5], -v[118:119]
	v_mul_f64 v[118:119], v[112:113], s[36:37]
	v_add_f64 v[18:19], v[116:117], v[18:19]
	v_mul_f64 v[116:117], v[114:115], s[36:37]
	scratch_store_b64 off, v[116:117], off offset:368 ; 8-byte Folded Spill
	v_fma_f64 v[116:117], v[177:178], s[10:11], v[116:117]
	s_delay_alu instid0(VALU_DEP_1) | instskip(SKIP_1) | instid1(VALU_DEP_1)
	v_add_f64 v[88:89], v[116:117], v[88:89]
	v_fma_f64 v[116:117], v[181:182], s[10:11], -v[118:119]
	v_add_f64 v[90:91], v[116:117], v[90:91]
	v_mul_f64 v[116:117], v[114:115], s[30:31]
	scratch_store_b64 off, v[118:119], off offset:376 ; 8-byte Folded Spill
	v_mul_f64 v[118:119], v[112:113], s[30:31]
	v_mul_f64 v[112:113], v[112:113], s[38:39]
	scratch_store_b64 off, v[116:117], off offset:448 ; 8-byte Folded Spill
	v_fma_f64 v[116:117], v[177:178], s[20:21], v[116:117]
	scratch_store_b64 off, v[118:119], off offset:456 ; 8-byte Folded Spill
	v_add_f64 v[92:93], v[116:117], v[92:93]
	v_fma_f64 v[116:117], v[181:182], s[20:21], -v[118:119]
	v_add_f64 v[118:119], v[60:61], -v[64:65]
	s_delay_alu instid0(VALU_DEP_2) | instskip(SKIP_2) | instid1(VALU_DEP_4)
	v_add_f64 v[94:95], v[116:117], v[94:95]
	v_mul_f64 v[116:117], v[114:115], s[52:53]
	v_mul_f64 v[114:115], v[114:115], s[38:39]
	;; [unrolled: 1-line block ×4, first 2 shown]
	s_mov_b32 s37, 0x3fefdd0d
	s_mov_b32 s36, s42
	v_mul_f64 v[132:133], v[118:119], s[40:41]
	v_mul_f64 v[124:125], v[118:119], s[36:37]
	scratch_store_b64 off, v[116:117], off offset:464 ; 8-byte Folded Spill
	v_fma_f64 v[116:117], v[177:178], s[18:19], v[116:117]
	s_delay_alu instid0(VALU_DEP_1) | instskip(SKIP_1) | instid1(VALU_DEP_1)
	v_add_f64 v[96:97], v[116:117], v[96:97]
	v_fma_f64 v[116:117], v[181:182], s[18:19], -v[243:244]
	v_add_f64 v[98:99], v[116:117], v[98:99]
	v_fma_f64 v[116:117], v[177:178], s[6:7], -v[114:115]
	v_fma_f64 v[114:115], v[177:178], s[6:7], v[114:115]
	s_delay_alu instid0(VALU_DEP_2) | instskip(SKIP_2) | instid1(VALU_DEP_4)
	v_add_f64 v[100:101], v[116:117], v[100:101]
	v_fma_f64 v[116:117], v[181:182], s[6:7], v[112:113]
	v_fma_f64 v[112:113], v[181:182], s[6:7], -v[112:113]
	v_add_f64 v[2:3], v[114:115], v[2:3]
	v_mul_f64 v[114:115], v[118:119], s[24:25]
	s_delay_alu instid0(VALU_DEP_4) | instskip(NEXT) | instid1(VALU_DEP_4)
	v_add_f64 v[102:103], v[116:117], v[102:103]
	v_add_f64 v[0:1], v[112:113], v[0:1]
	v_mul_f64 v[112:113], v[120:121], s[24:25]
	scratch_store_b64 off, v[114:115], off offset:440 ; 8-byte Folded Spill
	v_mul_f64 v[116:117], v[118:119], s[50:51]
	scratch_store_b64 off, v[112:113], off offset:432 ; 8-byte Folded Spill
	v_fma_f64 v[112:113], v[209:210], s[16:17], v[112:113]
	s_waitcnt lgkmcnt(0)
	s_waitcnt_vscnt null, 0x0
	s_barrier
	buffer_gl0_inv
	v_add_f64 v[4:5], v[112:113], v[4:5]
	v_fma_f64 v[112:113], v[211:212], s[16:17], -v[114:115]
	v_mul_f64 v[114:115], v[120:121], s[50:51]
	s_delay_alu instid0(VALU_DEP_2) | instskip(NEXT) | instid1(VALU_DEP_2)
	v_add_f64 v[6:7], v[112:113], v[6:7]
	v_fma_f64 v[112:113], v[209:210], s[20:21], v[114:115]
	s_delay_alu instid0(VALU_DEP_1) | instskip(SKIP_1) | instid1(VALU_DEP_1)
	v_add_f64 v[8:9], v[112:113], v[8:9]
	v_fma_f64 v[112:113], v[211:212], s[20:21], -v[116:117]
	v_add_f64 v[10:11], v[112:113], v[10:11]
	v_mul_f64 v[112:113], v[118:119], s[38:39]
	v_mul_f64 v[118:119], v[118:119], s[26:27]
	s_delay_alu instid0(VALU_DEP_2) | instskip(NEXT) | instid1(VALU_DEP_1)
	v_fma_f64 v[122:123], v[211:212], s[6:7], -v[112:113]
	v_add_f64 v[14:15], v[122:123], v[14:15]
	v_fma_f64 v[122:123], v[209:210], s[10:11], v[249:250]
	s_delay_alu instid0(VALU_DEP_1) | instskip(SKIP_1) | instid1(VALU_DEP_1)
	v_add_f64 v[16:17], v[122:123], v[16:17]
	v_fma_f64 v[122:123], v[211:212], s[10:11], -v[251:252]
	v_add_f64 v[18:19], v[122:123], v[18:19]
	v_fma_f64 v[122:123], v[209:210], s[22:23], v[245:246]
	s_delay_alu instid0(VALU_DEP_1) | instskip(SKIP_1) | instid1(VALU_DEP_1)
	v_add_f64 v[88:89], v[122:123], v[88:89]
	v_fma_f64 v[122:123], v[211:212], s[22:23], -v[247:248]
	v_add_f64 v[90:91], v[122:123], v[90:91]
	v_mul_f64 v[122:123], v[120:121], s[36:37]
	v_mul_f64 v[120:121], v[120:121], s[26:27]
	s_delay_alu instid0(VALU_DEP_2) | instskip(NEXT) | instid1(VALU_DEP_1)
	v_fma_f64 v[126:127], v[209:210], s[14:15], v[122:123]
	v_add_f64 v[92:93], v[126:127], v[92:93]
	v_fma_f64 v[126:127], v[211:212], s[14:15], -v[124:125]
	s_delay_alu instid0(VALU_DEP_1) | instskip(SKIP_1) | instid1(VALU_DEP_1)
	v_add_f64 v[94:95], v[126:127], v[94:95]
	v_fma_f64 v[126:127], v[209:210], s[4:5], v[130:131]
	v_add_f64 v[96:97], v[126:127], v[96:97]
	v_fma_f64 v[126:127], v[211:212], s[4:5], -v[132:133]
	s_delay_alu instid0(VALU_DEP_1) | instskip(SKIP_2) | instid1(VALU_DEP_2)
	v_add_f64 v[98:99], v[126:127], v[98:99]
	v_fma_f64 v[126:127], v[209:210], s[18:19], -v[120:121]
	v_fma_f64 v[120:121], v[209:210], s[18:19], v[120:121]
	v_add_f64 v[100:101], v[126:127], v[100:101]
	v_fma_f64 v[126:127], v[211:212], s[18:19], v[118:119]
	v_fma_f64 v[118:119], v[211:212], s[18:19], -v[118:119]
	s_delay_alu instid0(VALU_DEP_4) | instskip(NEXT) | instid1(VALU_DEP_3)
	v_add_f64 v[2:3], v[120:121], v[2:3]
	v_add_f64 v[102:103], v[126:127], v[102:103]
	s_delay_alu instid0(VALU_DEP_3) | instskip(SKIP_2) | instid1(VALU_DEP_2)
	v_add_f64 v[0:1], v[118:119], v[0:1]
	v_add_f64 v[126:127], v[68:69], -v[80:81]
	v_mul_f64 v[118:119], v[128:129], s[26:27]
	v_mul_f64 v[120:121], v[126:127], s[26:27]
	s_delay_alu instid0(VALU_DEP_2)
	v_fma_f64 v[134:135], v[239:240], s[18:19], v[118:119]
	v_mul_f64 v[152:153], v[126:127], s[48:49]
	v_mul_f64 v[146:147], v[126:127], s[40:41]
	;; [unrolled: 1-line block ×7, first 2 shown]
	v_add_f64 v[4:5], v[134:135], v[4:5]
	v_fma_f64 v[134:135], v[241:242], s[18:19], -v[120:121]
	s_delay_alu instid0(VALU_DEP_1) | instskip(SKIP_1) | instid1(VALU_DEP_1)
	v_add_f64 v[6:7], v[134:135], v[6:7]
	v_fma_f64 v[134:135], v[239:240], s[16:17], v[150:151]
	v_add_f64 v[8:9], v[134:135], v[8:9]
	v_fma_f64 v[134:135], v[241:242], s[16:17], -v[152:153]
	s_delay_alu instid0(VALU_DEP_1) | instskip(SKIP_1) | instid1(VALU_DEP_1)
	v_add_f64 v[10:11], v[134:135], v[10:11]
	v_fma_f64 v[134:135], v[239:240], s[4:5], v[142:143]
	;; [unrolled: 5-line block ×3, first 2 shown]
	v_add_f64 v[16:17], v[134:135], v[16:17]
	v_fma_f64 v[134:135], v[241:242], s[20:21], -v[140:141]
	s_delay_alu instid0(VALU_DEP_1) | instskip(SKIP_2) | instid1(VALU_DEP_2)
	v_add_f64 v[18:19], v[134:135], v[18:19]
	v_mul_f64 v[134:135], v[128:129], s[36:37]
	v_mul_f64 v[128:129], v[128:129], s[28:29]
	v_fma_f64 v[154:155], v[239:240], s[14:15], v[134:135]
	s_delay_alu instid0(VALU_DEP_1) | instskip(SKIP_1) | instid1(VALU_DEP_1)
	v_add_f64 v[88:89], v[154:155], v[88:89]
	v_fma_f64 v[154:155], v[241:242], s[14:15], -v[136:137]
	v_add_f64 v[90:91], v[154:155], v[90:91]
	v_fma_f64 v[154:155], v[239:240], s[6:7], v[158:159]
	s_delay_alu instid0(VALU_DEP_1) | instskip(SKIP_1) | instid1(VALU_DEP_1)
	v_add_f64 v[92:93], v[154:155], v[92:93]
	v_fma_f64 v[154:155], v[241:242], s[6:7], -v[161:162]
	v_add_f64 v[94:95], v[154:155], v[94:95]
	v_fma_f64 v[154:155], v[239:240], s[22:23], v[169:170]
	s_delay_alu instid0(VALU_DEP_1) | instskip(SKIP_1) | instid1(VALU_DEP_1)
	v_add_f64 v[96:97], v[154:155], v[96:97]
	v_fma_f64 v[154:155], v[241:242], s[22:23], -v[173:174]
	v_add_f64 v[98:99], v[154:155], v[98:99]
	v_fma_f64 v[154:155], v[239:240], s[10:11], -v[128:129]
	v_fma_f64 v[128:129], v[239:240], s[10:11], v[128:129]
	s_delay_alu instid0(VALU_DEP_2) | instskip(SKIP_2) | instid1(VALU_DEP_4)
	v_add_f64 v[100:101], v[154:155], v[100:101]
	v_fma_f64 v[154:155], v[241:242], s[10:11], v[126:127]
	v_fma_f64 v[126:127], v[241:242], s[10:11], -v[126:127]
	v_add_f64 v[2:3], v[128:129], v[2:3]
	v_add_f64 v[128:129], v[58:59], v[86:87]
	s_delay_alu instid0(VALU_DEP_4) | instskip(NEXT) | instid1(VALU_DEP_4)
	v_add_f64 v[102:103], v[154:155], v[102:103]
	v_add_f64 v[0:1], v[126:127], v[0:1]
	;; [unrolled: 1-line block ×3, first 2 shown]
	v_mul_f64 v[154:155], v[165:166], s[30:31]
	s_delay_alu instid0(VALU_DEP_1) | instskip(NEXT) | instid1(VALU_DEP_1)
	v_fma_f64 v[167:168], v[126:127], s[20:21], v[154:155]
	v_add_f64 v[4:5], v[167:168], v[4:5]
	v_fma_f64 v[167:168], v[128:129], s[20:21], -v[156:157]
	s_delay_alu instid0(VALU_DEP_1) | instskip(SKIP_1) | instid1(VALU_DEP_1)
	v_add_f64 v[6:7], v[167:168], v[6:7]
	v_fma_f64 v[167:168], v[126:127], s[10:11], v[187:188]
	v_add_f64 v[207:208], v[167:168], v[8:9]
	v_fma_f64 v[8:9], v[128:129], s[10:11], -v[189:190]
	v_mul_f64 v[167:168], v[165:166], s[40:41]
	v_mul_f64 v[165:166], v[165:166], s[24:25]
	s_delay_alu instid0(VALU_DEP_3) | instskip(SKIP_2) | instid1(VALU_DEP_2)
	v_add_f64 v[213:214], v[8:9], v[10:11]
	v_fma_f64 v[8:9], v[126:127], s[14:15], v[183:184]
	v_fma_f64 v[10:11], v[128:129], s[14:15], -v[185:186]
	v_add_f64 v[8:9], v[8:9], v[12:13]
	v_fma_f64 v[12:13], v[126:127], s[18:19], v[175:176]
	s_delay_alu instid0(VALU_DEP_3) | instskip(SKIP_1) | instid1(VALU_DEP_3)
	v_add_f64 v[10:11], v[10:11], v[14:15]
	v_fma_f64 v[14:15], v[128:129], s[18:19], -v[179:180]
	v_add_f64 v[12:13], v[12:13], v[16:17]
	v_fma_f64 v[16:17], v[126:127], s[4:5], v[167:168]
	s_delay_alu instid0(VALU_DEP_3) | instskip(SKIP_1) | instid1(VALU_DEP_3)
	v_add_f64 v[14:15], v[14:15], v[18:19]
	;; [unrolled: 5-line block ×4, first 2 shown]
	v_fma_f64 v[94:95], v[128:129], s[6:7], -v[201:202]
	v_add_f64 v[92:93], v[92:93], v[96:97]
	v_fma_f64 v[96:97], v[126:127], s[16:17], -v[165:166]
	s_delay_alu instid0(VALU_DEP_3) | instskip(SKIP_1) | instid1(VALU_DEP_3)
	v_add_f64 v[94:95], v[94:95], v[98:99]
	v_fma_f64 v[98:99], v[128:129], s[16:17], v[163:164]
	v_add_f64 v[96:97], v[96:97], v[100:101]
	v_fma_f64 v[100:101], v[126:127], s[16:17], v[165:166]
	s_delay_alu instid0(VALU_DEP_3) | instskip(SKIP_1) | instid1(VALU_DEP_3)
	v_add_f64 v[98:99], v[98:99], v[102:103]
	v_add_f64 v[165:166], v[74:75], v[78:79]
	v_add_f64 v[100:101], v[100:101], v[2:3]
	v_fma_f64 v[2:3], v[128:129], s[16:17], -v[163:164]
	v_add_f64 v[163:164], v[72:73], v[76:77]
	s_delay_alu instid0(VALU_DEP_2) | instskip(NEXT) | instid1(VALU_DEP_2)
	v_add_f64 v[102:103], v[2:3], v[0:1]
	v_fma_f64 v[0:1], v[163:164], s[22:23], v[193:194]
	v_fma_f64 v[2:3], v[165:166], s[22:23], -v[197:198]
	s_delay_alu instid0(VALU_DEP_2) | instskip(SKIP_1) | instid1(VALU_DEP_3)
	v_add_f64 v[0:1], v[0:1], v[4:5]
	v_fma_f64 v[4:5], v[163:164], s[4:5], v[203:204]
	v_add_f64 v[2:3], v[2:3], v[6:7]
	v_fma_f64 v[6:7], v[165:166], s[4:5], -v[205:206]
	s_delay_alu instid0(VALU_DEP_3) | instskip(SKIP_1) | instid1(VALU_DEP_3)
	v_add_f64 v[4:5], v[4:5], v[207:208]
	v_mul_f64 v[207:208], v[233:234], s[30:31]
	v_add_f64 v[6:7], v[6:7], v[213:214]
	v_mul_f64 v[213:214], v[227:228], s[30:31]
	v_mul_f64 v[227:228], v[227:228], s[36:37]
	s_delay_alu instid0(VALU_DEP_4) | instskip(NEXT) | instid1(VALU_DEP_1)
	v_fma_f64 v[215:216], v[163:164], s[20:21], v[207:208]
	v_add_f64 v[8:9], v[215:216], v[8:9]
	s_delay_alu instid0(VALU_DEP_4) | instskip(NEXT) | instid1(VALU_DEP_1)
	v_fma_f64 v[215:216], v[165:166], s[20:21], -v[213:214]
	v_add_f64 v[10:11], v[215:216], v[10:11]
	v_mul_f64 v[215:216], v[233:234], s[38:39]
	s_delay_alu instid0(VALU_DEP_1) | instskip(NEXT) | instid1(VALU_DEP_1)
	v_fma_f64 v[219:220], v[163:164], s[6:7], v[215:216]
	v_add_f64 v[12:13], v[219:220], v[12:13]
	v_fma_f64 v[219:220], v[165:166], s[6:7], -v[217:218]
	s_delay_alu instid0(VALU_DEP_1) | instskip(SKIP_1) | instid1(VALU_DEP_1)
	v_add_f64 v[14:15], v[219:220], v[14:15]
	v_mul_f64 v[219:220], v[233:234], s[26:27]
	v_fma_f64 v[223:224], v[163:164], s[18:19], v[219:220]
	s_delay_alu instid0(VALU_DEP_1) | instskip(SKIP_1) | instid1(VALU_DEP_1)
	v_add_f64 v[16:17], v[223:224], v[16:17]
	v_fma_f64 v[223:224], v[165:166], s[18:19], -v[221:222]
	v_add_f64 v[18:19], v[223:224], v[18:19]
	v_mul_f64 v[223:224], v[233:234], s[28:29]
	s_delay_alu instid0(VALU_DEP_1) | instskip(NEXT) | instid1(VALU_DEP_1)
	v_fma_f64 v[229:230], v[163:164], s[10:11], v[223:224]
	v_add_f64 v[88:89], v[229:230], v[88:89]
	v_fma_f64 v[229:230], v[165:166], s[10:11], -v[225:226]
	s_delay_alu instid0(VALU_DEP_1) | instskip(SKIP_2) | instid1(VALU_DEP_2)
	v_add_f64 v[90:91], v[229:230], v[90:91]
	v_mul_f64 v[229:230], v[233:234], s[24:25]
	v_mul_f64 v[233:234], v[233:234], s[36:37]
	v_fma_f64 v[236:237], v[163:164], s[16:17], v[229:230]
	s_delay_alu instid0(VALU_DEP_1) | instskip(SKIP_1) | instid1(VALU_DEP_1)
	v_add_f64 v[92:93], v[236:237], v[92:93]
	v_fma_f64 v[236:237], v[165:166], s[16:17], -v[231:232]
	v_add_f64 v[94:95], v[236:237], v[94:95]
	v_fma_f64 v[236:237], v[163:164], s[14:15], -v[233:234]
	v_fma_f64 v[233:234], v[163:164], s[14:15], v[233:234]
	s_delay_alu instid0(VALU_DEP_2) | instskip(SKIP_2) | instid1(VALU_DEP_4)
	v_add_f64 v[96:97], v[236:237], v[96:97]
	v_fma_f64 v[236:237], v[165:166], s[14:15], v[227:228]
	v_fma_f64 v[227:228], v[165:166], s[14:15], -v[227:228]
	v_add_f64 v[100:101], v[233:234], v[100:101]
	s_delay_alu instid0(VALU_DEP_3) | instskip(NEXT) | instid1(VALU_DEP_3)
	v_add_f64 v[98:99], v[236:237], v[98:99]
	v_add_f64 v[102:103], v[227:228], v[102:103]
	v_mov_b32_e32 v227, v238
	v_mul_lo_u16 v228, v238, 17
	scratch_store_b32 off, v228, off offset:4 ; 4-byte Folded Spill
	s_and_saveexec_b32 s24, vcc_lo
	s_cbranch_execz .LBB0_7
; %bb.6:
	v_add_f64 v[50:51], v[22:23], v[50:51]
	v_add_f64 v[48:49], v[20:21], v[48:49]
	s_delay_alu instid0(VALU_DEP_2) | instskip(NEXT) | instid1(VALU_DEP_2)
	v_add_f64 v[50:51], v[54:55], v[50:51]
	v_add_f64 v[48:49], v[52:53], v[48:49]
	s_clause 0x1
	scratch_load_b64 v[52:53], off, off offset:32
	scratch_load_b64 v[54:55], off, off offset:16
	v_add_f64 v[42:43], v[42:43], v[50:51]
	v_add_f64 v[40:41], v[40:41], v[48:49]
	s_clause 0x1
	scratch_load_b64 v[50:51], off, off offset:40
	scratch_load_b64 v[48:49], off, off offset:48
	;; [unrolled: 5-line block ×4, first 2 shown]
	v_add_f64 v[42:43], v[70:71], v[42:43]
	v_add_f64 v[40:41], v[68:69], v[40:41]
	scratch_load_b64 v[68:69], off, off offset:240 ; 8-byte Folded Reload
	v_add_f64 v[42:43], v[58:59], v[42:43]
	v_add_f64 v[40:41], v[56:57], v[40:41]
	scratch_load_b64 v[56:57], off, off offset:8 ; 8-byte Folded Reload
	v_add_f64 v[42:43], v[74:75], v[42:43]
	v_add_f64 v[40:41], v[72:73], v[40:41]
	s_delay_alu instid0(VALU_DEP_2) | instskip(NEXT) | instid1(VALU_DEP_2)
	v_add_f64 v[42:43], v[78:79], v[42:43]
	v_add_f64 v[40:41], v[76:77], v[40:41]
	s_delay_alu instid0(VALU_DEP_2) | instskip(NEXT) | instid1(VALU_DEP_2)
	;; [unrolled: 3-line block ×4, first 2 shown]
	v_add_f64 v[42:43], v[66:67], v[42:43]
	v_add_f64 v[40:41], v[64:65], v[40:41]
	v_mul_f64 v[66:67], v[104:105], s[10:11]
	v_mul_f64 v[64:65], v[209:210], s[4:5]
	s_delay_alu instid0(VALU_DEP_4) | instskip(NEXT) | instid1(VALU_DEP_4)
	v_add_f64 v[38:39], v[38:39], v[42:43]
	v_add_f64 v[36:37], v[36:37], v[40:41]
	s_clause 0x1
	scratch_load_b64 v[40:41], off, off offset:80
	scratch_load_b64 v[42:43], off, off offset:72
	v_add_f64 v[64:65], v[64:65], -v[130:131]
	v_add_f64 v[34:35], v[34:35], v[38:39]
	v_add_f64 v[32:33], v[32:33], v[36:37]
	s_clause 0x1
	scratch_load_b64 v[36:37], off, off offset:96
	scratch_load_b64 v[38:39], off, off offset:88
	s_waitcnt vmcnt(5)
	v_add_f64 v[66:67], v[66:67], -v[68:69]
	v_mul_f64 v[68:69], v[144:145], s[14:15]
	v_add_f64 v[30:31], v[30:31], v[34:35]
	v_add_f64 v[28:29], v[28:29], v[32:33]
	s_clause 0x1
	scratch_load_b64 v[32:33], off, off offset:128
	scratch_load_b64 v[34:35], off, off offset:104
	v_add_f64 v[26:27], v[26:27], v[30:31]
	scratch_load_b64 v[30:31], off, off offset:136 ; 8-byte Folded Reload
	v_add_f64 v[24:25], v[24:25], v[28:29]
	v_mul_f64 v[28:29], v[110:111], s[20:21]
	s_waitcnt vmcnt(0)
	s_delay_alu instid0(VALU_DEP_1) | instskip(SKIP_1) | instid1(VALU_DEP_2)
	v_add_f64 v[28:29], v[30:31], v[28:29]
	v_mul_f64 v[30:31], v[108:109], s[20:21]
	v_add_f64 v[28:29], v[22:23], v[28:29]
	s_delay_alu instid0(VALU_DEP_2) | instskip(SKIP_1) | instid1(VALU_DEP_2)
	v_add_f64 v[30:31], v[30:31], -v[32:33]
	v_mul_f64 v[32:33], v[110:111], s[18:19]
	v_add_f64 v[30:31], v[20:21], v[30:31]
	s_delay_alu instid0(VALU_DEP_2) | instskip(SKIP_1) | instid1(VALU_DEP_3)
	v_add_f64 v[32:33], v[34:35], v[32:33]
	v_mul_f64 v[34:35], v[108:109], s[18:19]
	v_add_f64 v[30:31], v[66:67], v[30:31]
	scratch_load_b64 v[66:67], off, off offset:464 ; 8-byte Folded Reload
	v_add_f64 v[34:35], v[34:35], -v[36:37]
	v_mul_f64 v[36:37], v[110:111], s[16:17]
	scratch_load_b64 v[70:71], off, off offset:352 ; 8-byte Folded Reload
	v_add_f64 v[32:33], v[22:23], v[32:33]
	v_add_f64 v[34:35], v[20:21], v[34:35]
	;; [unrolled: 1-line block ×3, first 2 shown]
	v_mul_f64 v[38:39], v[108:109], s[16:17]
	s_delay_alu instid0(VALU_DEP_1) | instskip(SKIP_1) | instid1(VALU_DEP_2)
	v_add_f64 v[38:39], v[38:39], -v[40:41]
	v_mul_f64 v[40:41], v[110:111], s[14:15]
	v_add_f64 v[58:59], v[20:21], v[38:39]
	s_delay_alu instid0(VALU_DEP_2) | instskip(SKIP_1) | instid1(VALU_DEP_2)
	v_add_f64 v[40:41], v[42:43], v[40:41]
	v_mul_f64 v[42:43], v[108:109], s[14:15]
	v_add_f64 v[40:41], v[22:23], v[40:41]
	s_delay_alu instid0(VALU_DEP_2) | instskip(SKIP_1) | instid1(VALU_DEP_2)
	v_add_f64 v[42:43], v[42:43], -v[44:45]
	v_mul_f64 v[44:45], v[110:111], s[10:11]
	v_add_f64 v[42:43], v[20:21], v[42:43]
	s_delay_alu instid0(VALU_DEP_2) | instskip(SKIP_1) | instid1(VALU_DEP_1)
	v_add_f64 v[44:45], v[46:47], v[44:45]
	v_mul_f64 v[46:47], v[108:109], s[10:11]
	v_add_f64 v[46:47], v[46:47], -v[48:49]
	v_mul_f64 v[48:49], v[110:111], s[6:7]
	s_delay_alu instid0(VALU_DEP_2) | instskip(NEXT) | instid1(VALU_DEP_2)
	v_add_f64 v[38:39], v[20:21], v[46:47]
	v_add_f64 v[48:49], v[50:51], v[48:49]
	v_mul_f64 v[50:51], v[108:109], s[6:7]
	s_delay_alu instid0(VALU_DEP_1) | instskip(SKIP_3) | instid1(VALU_DEP_3)
	v_add_f64 v[50:51], v[50:51], -v[52:53]
	v_mul_f64 v[52:53], v[110:111], s[4:5]
	s_waitcnt vmcnt(0)
	v_add_f64 v[68:69], v[68:69], -v[70:71]
	v_add_f64 v[46:47], v[20:21], v[50:51]
	s_delay_alu instid0(VALU_DEP_3) | instskip(SKIP_1) | instid1(VALU_DEP_4)
	v_add_f64 v[52:53], v[54:55], v[52:53]
	v_mul_f64 v[54:55], v[108:109], s[4:5]
	v_add_f64 v[30:31], v[68:69], v[30:31]
	s_delay_alu instid0(VALU_DEP_2)
	v_add_f64 v[54:55], v[54:55], -v[56:57]
	v_add_f64 v[56:57], v[22:23], v[36:37]
	v_add_f64 v[36:37], v[22:23], v[44:45]
	v_add_f64 v[44:45], v[22:23], v[48:49]
	v_add_f64 v[48:49], v[22:23], v[52:53]
	v_mul_f64 v[52:53], v[181:182], s[18:19]
	v_mul_f64 v[22:23], v[211:212], s[4:5]
	v_add_f64 v[50:51], v[20:21], v[54:55]
	v_mul_f64 v[54:55], v[148:149], s[14:15]
	v_mul_f64 v[20:21], v[241:242], s[22:23]
	v_add_f64 v[52:53], v[243:244], v[52:53]
	v_add_f64 v[22:23], v[132:133], v[22:23]
	s_delay_alu instid0(VALU_DEP_4) | instskip(SKIP_2) | instid1(VALU_DEP_2)
	v_add_f64 v[54:55], v[60:61], v[54:55]
	v_mul_f64 v[60:61], v[106:107], s[10:11]
	v_add_f64 v[20:21], v[173:174], v[20:21]
	v_add_f64 v[60:61], v[62:63], v[60:61]
	v_mul_f64 v[62:63], v[239:240], s[22:23]
	s_delay_alu instid0(VALU_DEP_2) | instskip(SKIP_1) | instid1(VALU_DEP_3)
	v_add_f64 v[28:29], v[60:61], v[28:29]
	v_mul_f64 v[60:61], v[177:178], s[18:19]
	v_add_f64 v[62:63], v[62:63], -v[169:170]
	s_delay_alu instid0(VALU_DEP_3) | instskip(NEXT) | instid1(VALU_DEP_3)
	v_add_f64 v[28:29], v[54:55], v[28:29]
	v_add_f64 v[60:61], v[60:61], -v[66:67]
	v_mul_f64 v[54:55], v[128:129], s[6:7]
	s_clause 0x1
	scratch_load_b64 v[66:67], off, off offset:328
	scratch_load_b64 v[68:69], off, off offset:208
	v_add_f64 v[28:29], v[52:53], v[28:29]
	v_add_f64 v[30:31], v[60:61], v[30:31]
	v_mul_f64 v[52:53], v[126:127], s[6:7]
	v_add_f64 v[54:55], v[201:202], v[54:55]
	scratch_load_b64 v[60:61], off, off offset:216 ; 8-byte Folded Reload
	v_add_f64 v[22:23], v[22:23], v[28:29]
	v_add_f64 v[28:29], v[64:65], v[30:31]
	v_add_f64 v[52:53], v[52:53], -v[199:200]
	v_mul_f64 v[30:31], v[165:166], s[16:17]
	scratch_load_b64 v[64:65], off, off offset:448 ; 8-byte Folded Reload
	v_add_f64 v[20:21], v[20:21], v[22:23]
	v_add_f64 v[22:23], v[62:63], v[28:29]
	v_mul_f64 v[28:29], v[163:164], s[16:17]
	v_add_f64 v[30:31], v[231:232], v[30:31]
	v_mul_f64 v[62:63], v[177:178], s[20:21]
	v_add_f64 v[20:21], v[54:55], v[20:21]
	v_add_f64 v[52:53], v[52:53], v[22:23]
	v_add_f64 v[28:29], v[28:29], -v[229:230]
	scratch_load_b64 v[54:55], off, off offset:336 ; 8-byte Folded Reload
	v_add_f64 v[22:23], v[30:31], v[20:21]
	v_mul_f64 v[30:31], v[181:182], s[20:21]
	v_add_f64 v[20:21], v[28:29], v[52:53]
	scratch_load_b64 v[52:53], off, off offset:456 ; 8-byte Folded Reload
	v_mul_f64 v[28:29], v[211:212], s[14:15]
	s_delay_alu instid0(VALU_DEP_1) | instskip(SKIP_3) | instid1(VALU_DEP_1)
	v_add_f64 v[28:29], v[124:125], v[28:29]
	s_waitcnt vmcnt(2)
	v_add_f64 v[62:63], v[62:63], -v[64:65]
	v_mul_f64 v[64:65], v[144:145], s[4:5]
	v_add_f64 v[64:65], v[64:65], -v[66:67]
	v_mul_f64 v[66:67], v[104:105], s[16:17]
	s_delay_alu instid0(VALU_DEP_1) | instskip(SKIP_4) | instid1(VALU_DEP_4)
	v_add_f64 v[66:67], v[66:67], -v[68:69]
	v_mul_f64 v[68:69], v[241:242], s[6:7]
	s_waitcnt vmcnt(0)
	v_add_f64 v[30:31], v[52:53], v[30:31]
	v_mul_f64 v[52:53], v[148:149], s[4:5]
	v_add_f64 v[34:35], v[66:67], v[34:35]
	s_delay_alu instid0(VALU_DEP_4) | instskip(SKIP_1) | instid1(VALU_DEP_4)
	v_add_f64 v[68:69], v[161:162], v[68:69]
	v_mul_f64 v[66:67], v[209:210], s[20:21]
	v_add_f64 v[52:53], v[54:55], v[52:53]
	v_mul_f64 v[54:55], v[106:107], s[16:17]
	v_add_f64 v[34:35], v[64:65], v[34:35]
	s_delay_alu instid0(VALU_DEP_4) | instskip(NEXT) | instid1(VALU_DEP_3)
	v_add_f64 v[66:67], v[66:67], -v[114:115]
	v_add_f64 v[54:55], v[60:61], v[54:55]
	v_mul_f64 v[60:61], v[209:210], s[14:15]
	s_delay_alu instid0(VALU_DEP_2) | instskip(NEXT) | instid1(VALU_DEP_2)
	v_add_f64 v[32:33], v[54:55], v[32:33]
	v_add_f64 v[60:61], v[60:61], -v[122:123]
	v_mul_f64 v[54:55], v[239:240], s[6:7]
	s_delay_alu instid0(VALU_DEP_3) | instskip(SKIP_1) | instid1(VALU_DEP_3)
	v_add_f64 v[32:33], v[52:53], v[32:33]
	v_mul_f64 v[52:53], v[128:129], s[22:23]
	v_add_f64 v[54:55], v[54:55], -v[158:159]
	s_delay_alu instid0(VALU_DEP_3)
	v_add_f64 v[30:31], v[30:31], v[32:33]
	v_add_f64 v[32:33], v[62:63], v[34:35]
	v_mul_f64 v[34:35], v[126:127], s[22:23]
	v_add_f64 v[52:53], v[195:196], v[52:53]
	s_clause 0x1
	scratch_load_b64 v[62:63], off, off offset:304
	scratch_load_b64 v[64:65], off, off offset:192
	v_add_f64 v[28:29], v[28:29], v[30:31]
	v_add_f64 v[30:31], v[60:61], v[32:33]
	v_add_f64 v[34:35], v[34:35], -v[191:192]
	v_mul_f64 v[32:33], v[165:166], s[10:11]
	scratch_load_b64 v[60:61], off, off offset:416 ; 8-byte Folded Reload
	v_add_f64 v[28:29], v[68:69], v[28:29]
	v_add_f64 v[30:31], v[54:55], v[30:31]
	v_mul_f64 v[54:55], v[163:164], s[10:11]
	v_add_f64 v[32:33], v[225:226], v[32:33]
	v_mul_f64 v[68:69], v[241:242], s[16:17]
	v_add_f64 v[28:29], v[52:53], v[28:29]
	v_add_f64 v[34:35], v[34:35], v[30:31]
	v_add_f64 v[54:55], v[54:55], -v[223:224]
	scratch_load_b64 v[52:53], off, off offset:312 ; 8-byte Folded Reload
	v_add_f64 v[68:69], v[152:153], v[68:69]
	v_add_f64 v[30:31], v[32:33], v[28:29]
	v_mul_f64 v[32:33], v[181:182], s[22:23]
	v_add_f64 v[28:29], v[54:55], v[34:35]
	s_clause 0x1
	scratch_load_b64 v[34:35], off, off offset:424
	scratch_load_b64 v[54:55], off, off offset:200
	s_waitcnt vmcnt(1)
	v_add_f64 v[32:33], v[34:35], v[32:33]
	v_mul_f64 v[34:35], v[148:149], s[18:19]
	s_delay_alu instid0(VALU_DEP_1) | instskip(SKIP_2) | instid1(VALU_DEP_1)
	v_add_f64 v[34:35], v[52:53], v[34:35]
	v_mul_f64 v[52:53], v[106:107], s[14:15]
	s_waitcnt vmcnt(0)
	v_add_f64 v[52:53], v[54:55], v[52:53]
	v_mul_f64 v[54:55], v[177:178], s[22:23]
	s_delay_alu instid0(VALU_DEP_2) | instskip(NEXT) | instid1(VALU_DEP_2)
	v_add_f64 v[44:45], v[52:53], v[44:45]
	v_add_f64 v[54:55], v[54:55], -v[60:61]
	v_mul_f64 v[60:61], v[144:145], s[18:19]
	v_mul_f64 v[52:53], v[239:240], s[16:17]
	s_delay_alu instid0(VALU_DEP_4) | instskip(NEXT) | instid1(VALU_DEP_3)
	v_add_f64 v[34:35], v[34:35], v[44:45]
	v_add_f64 v[60:61], v[60:61], -v[62:63]
	v_mul_f64 v[62:63], v[104:105], s[14:15]
	s_delay_alu instid0(VALU_DEP_4) | instskip(NEXT) | instid1(VALU_DEP_4)
	v_add_f64 v[52:53], v[52:53], -v[150:151]
	v_add_f64 v[32:33], v[32:33], v[34:35]
	s_delay_alu instid0(VALU_DEP_3) | instskip(SKIP_1) | instid1(VALU_DEP_2)
	v_add_f64 v[62:63], v[62:63], -v[64:65]
	v_mul_f64 v[64:65], v[211:212], s[20:21]
	v_add_f64 v[46:47], v[62:63], v[46:47]
	s_delay_alu instid0(VALU_DEP_2) | instskip(SKIP_1) | instid1(VALU_DEP_3)
	v_add_f64 v[64:65], v[116:117], v[64:65]
	v_mul_f64 v[62:63], v[177:178], s[16:17]
	v_add_f64 v[44:45], v[60:61], v[46:47]
	v_mul_f64 v[46:47], v[128:129], s[10:11]
	s_delay_alu instid0(VALU_DEP_4)
	v_add_f64 v[32:33], v[64:65], v[32:33]
	s_clause 0x1
	scratch_load_b64 v[60:61], off, off offset:184
	scratch_load_b64 v[64:65], off, off offset:400
	v_add_f64 v[34:35], v[54:55], v[44:45]
	v_mul_f64 v[44:45], v[126:127], s[10:11]
	v_add_f64 v[46:47], v[189:190], v[46:47]
	v_mul_f64 v[54:55], v[165:166], s[4:5]
	v_add_f64 v[32:33], v[68:69], v[32:33]
	v_add_f64 v[34:35], v[66:67], v[34:35]
	scratch_load_b64 v[66:67], off, off offset:288 ; 8-byte Folded Reload
	v_add_f64 v[44:45], v[44:45], -v[187:188]
	v_add_f64 v[54:55], v[205:206], v[54:55]
	v_add_f64 v[32:33], v[46:47], v[32:33]
	scratch_load_b64 v[68:69], off, off offset:176 ; 8-byte Folded Reload
	v_mul_f64 v[46:47], v[181:182], s[16:17]
	v_add_f64 v[34:35], v[52:53], v[34:35]
	v_mul_f64 v[52:53], v[163:164], s[4:5]
	s_delay_alu instid0(VALU_DEP_2) | instskip(NEXT) | instid1(VALU_DEP_2)
	v_add_f64 v[44:45], v[44:45], v[34:35]
	v_add_f64 v[52:53], v[52:53], -v[203:204]
	v_add_f64 v[34:35], v[54:55], v[32:33]
	scratch_load_b64 v[54:55], off, off offset:296 ; 8-byte Folded Reload
	v_add_f64 v[32:33], v[52:53], v[44:45]
	scratch_load_b64 v[52:53], off, off offset:408 ; 8-byte Folded Reload
	v_mul_f64 v[44:45], v[211:212], s[6:7]
	s_delay_alu instid0(VALU_DEP_1) | instskip(SKIP_4) | instid1(VALU_DEP_1)
	v_add_f64 v[44:45], v[112:113], v[44:45]
	s_waitcnt vmcnt(4)
	v_add_f64 v[62:63], v[62:63], -v[64:65]
	v_mul_f64 v[64:65], v[144:145], s[22:23]
	s_waitcnt vmcnt(3)
	v_add_f64 v[64:65], v[64:65], -v[66:67]
	v_mul_f64 v[66:67], v[104:105], s[18:19]
	s_waitcnt vmcnt(2)
	s_delay_alu instid0(VALU_DEP_1) | instskip(SKIP_1) | instid1(VALU_DEP_2)
	v_add_f64 v[66:67], v[66:67], -v[68:69]
	v_mul_f64 v[68:69], v[241:242], s[4:5]
	v_add_f64 v[38:39], v[66:67], v[38:39]
	s_delay_alu instid0(VALU_DEP_2)
	v_add_f64 v[68:69], v[146:147], v[68:69]
	scratch_load_b64 v[66:67], off, off offset:272 ; 8-byte Folded Reload
	s_waitcnt vmcnt(1)
	v_add_f64 v[46:47], v[52:53], v[46:47]
	v_mul_f64 v[52:53], v[148:149], s[22:23]
	v_add_f64 v[38:39], v[64:65], v[38:39]
	scratch_load_b64 v[64:65], off, off offset:384 ; 8-byte Folded Reload
	v_add_f64 v[52:53], v[54:55], v[52:53]
	v_mul_f64 v[54:55], v[106:107], s[18:19]
	v_add_f64 v[38:39], v[62:63], v[38:39]
	v_mul_f64 v[62:63], v[177:178], s[4:5]
	s_delay_alu instid0(VALU_DEP_3) | instskip(SKIP_1) | instid1(VALU_DEP_2)
	v_add_f64 v[54:55], v[60:61], v[54:55]
	v_mul_f64 v[60:61], v[209:210], s[6:7]
	v_add_f64 v[36:37], v[54:55], v[36:37]
	s_delay_alu instid0(VALU_DEP_2) | instskip(SKIP_1) | instid1(VALU_DEP_3)
	v_add_f64 v[60:61], v[60:61], -v[253:254]
	v_mul_f64 v[54:55], v[239:240], s[4:5]
	v_add_f64 v[36:37], v[52:53], v[36:37]
	v_mul_f64 v[52:53], v[128:129], s[14:15]
	s_delay_alu instid0(VALU_DEP_3)
	v_add_f64 v[54:55], v[54:55], -v[142:143]
	v_add_f64 v[38:39], v[60:61], v[38:39]
	scratch_load_b64 v[60:61], off, off offset:168 ; 8-byte Folded Reload
	v_add_f64 v[36:37], v[46:47], v[36:37]
	v_mul_f64 v[46:47], v[126:127], s[14:15]
	v_add_f64 v[52:53], v[185:186], v[52:53]
	v_add_f64 v[38:39], v[54:55], v[38:39]
	v_mul_f64 v[54:55], v[163:164], s[20:21]
	v_add_f64 v[36:37], v[44:45], v[36:37]
	v_add_f64 v[46:47], v[46:47], -v[183:184]
	v_mul_f64 v[44:45], v[165:166], s[20:21]
	s_delay_alu instid0(VALU_DEP_4) | instskip(NEXT) | instid1(VALU_DEP_4)
	v_add_f64 v[54:55], v[54:55], -v[207:208]
	v_add_f64 v[36:37], v[68:69], v[36:37]
	s_delay_alu instid0(VALU_DEP_4) | instskip(NEXT) | instid1(VALU_DEP_4)
	v_add_f64 v[46:47], v[46:47], v[38:39]
	v_add_f64 v[44:45], v[213:214], v[44:45]
	scratch_load_b64 v[68:69], off, off offset:160 ; 8-byte Folded Reload
	v_add_f64 v[36:37], v[52:53], v[36:37]
	scratch_load_b64 v[52:53], off, off offset:392 ; 8-byte Folded Reload
	s_waitcnt vmcnt(3)
	v_add_f64 v[62:63], v[62:63], -v[64:65]
	v_mul_f64 v[64:65], v[144:145], s[16:17]
	v_add_f64 v[38:39], v[44:45], v[36:37]
	v_add_f64 v[36:37], v[54:55], v[46:47]
	scratch_load_b64 v[54:55], off, off offset:280 ; 8-byte Folded Reload
	v_mul_f64 v[46:47], v[181:182], s[4:5]
	v_mul_f64 v[44:45], v[211:212], s[10:11]
	v_add_f64 v[64:65], v[64:65], -v[66:67]
	v_mul_f64 v[66:67], v[104:105], s[22:23]
	s_delay_alu instid0(VALU_DEP_3) | instskip(SKIP_1) | instid1(VALU_DEP_2)
	v_add_f64 v[44:45], v[251:252], v[44:45]
	s_waitcnt vmcnt(2)
	v_add_f64 v[66:67], v[66:67], -v[68:69]
	v_mul_f64 v[68:69], v[241:242], s[20:21]
	s_waitcnt vmcnt(1)
	v_add_f64 v[46:47], v[52:53], v[46:47]
	v_mul_f64 v[52:53], v[148:149], s[16:17]
	s_delay_alu instid0(VALU_DEP_4) | instskip(NEXT) | instid1(VALU_DEP_4)
	v_add_f64 v[42:43], v[66:67], v[42:43]
	v_add_f64 v[68:69], v[140:141], v[68:69]
	scratch_load_b64 v[66:67], off, off offset:256 ; 8-byte Folded Reload
	s_waitcnt vmcnt(1)
	v_add_f64 v[52:53], v[54:55], v[52:53]
	v_mul_f64 v[54:55], v[106:107], s[22:23]
	v_add_f64 v[42:43], v[64:65], v[42:43]
	scratch_load_b64 v[64:65], off, off offset:368 ; 8-byte Folded Reload
	v_add_f64 v[54:55], v[60:61], v[54:55]
	v_mul_f64 v[60:61], v[209:210], s[10:11]
	v_add_f64 v[42:43], v[62:63], v[42:43]
	v_mul_f64 v[62:63], v[177:178], s[10:11]
	s_delay_alu instid0(VALU_DEP_4) | instskip(NEXT) | instid1(VALU_DEP_4)
	v_add_f64 v[40:41], v[54:55], v[40:41]
	v_add_f64 v[60:61], v[60:61], -v[249:250]
	v_mul_f64 v[54:55], v[239:240], s[20:21]
	s_delay_alu instid0(VALU_DEP_3) | instskip(SKIP_1) | instid1(VALU_DEP_3)
	v_add_f64 v[40:41], v[52:53], v[40:41]
	v_mul_f64 v[52:53], v[128:129], s[18:19]
	v_add_f64 v[54:55], v[54:55], -v[138:139]
	v_add_f64 v[42:43], v[60:61], v[42:43]
	scratch_load_b64 v[60:61], off, off offset:152 ; 8-byte Folded Reload
	v_add_f64 v[40:41], v[46:47], v[40:41]
	v_mul_f64 v[46:47], v[126:127], s[18:19]
	v_add_f64 v[52:53], v[179:180], v[52:53]
	v_add_f64 v[42:43], v[54:55], v[42:43]
	v_mul_f64 v[54:55], v[163:164], s[6:7]
	v_add_f64 v[40:41], v[44:45], v[40:41]
	v_add_f64 v[46:47], v[46:47], -v[175:176]
	v_mul_f64 v[44:45], v[165:166], s[6:7]
	s_delay_alu instid0(VALU_DEP_4) | instskip(NEXT) | instid1(VALU_DEP_4)
	v_add_f64 v[54:55], v[54:55], -v[215:216]
	v_add_f64 v[40:41], v[68:69], v[40:41]
	s_delay_alu instid0(VALU_DEP_4) | instskip(NEXT) | instid1(VALU_DEP_4)
	v_add_f64 v[46:47], v[46:47], v[42:43]
	v_add_f64 v[44:45], v[217:218], v[44:45]
	scratch_load_b64 v[68:69], off, off offset:144 ; 8-byte Folded Reload
	v_add_f64 v[40:41], v[52:53], v[40:41]
	scratch_load_b64 v[52:53], off, off offset:376 ; 8-byte Folded Reload
	v_add_f64 v[42:43], v[44:45], v[40:41]
	v_add_f64 v[40:41], v[54:55], v[46:47]
	scratch_load_b64 v[54:55], off, off offset:264 ; 8-byte Folded Reload
	v_mul_f64 v[46:47], v[181:182], s[10:11]
	v_mul_f64 v[44:45], v[211:212], s[22:23]
	s_waitcnt vmcnt(4)
	v_add_f64 v[62:63], v[62:63], -v[64:65]
	v_mul_f64 v[64:65], v[144:145], s[6:7]
	s_delay_alu instid0(VALU_DEP_3) | instskip(NEXT) | instid1(VALU_DEP_2)
	v_add_f64 v[44:45], v[247:248], v[44:45]
	v_add_f64 v[64:65], v[64:65], -v[66:67]
	v_mul_f64 v[66:67], v[104:105], s[20:21]
	s_waitcnt vmcnt(2)
	s_delay_alu instid0(VALU_DEP_1) | instskip(SKIP_4) | instid1(VALU_DEP_3)
	v_add_f64 v[66:67], v[66:67], -v[68:69]
	v_mul_f64 v[68:69], v[241:242], s[14:15]
	s_waitcnt vmcnt(1)
	v_add_f64 v[46:47], v[52:53], v[46:47]
	v_mul_f64 v[52:53], v[148:149], s[6:7]
	v_add_f64 v[68:69], v[136:137], v[68:69]
	s_waitcnt vmcnt(0)
	s_delay_alu instid0(VALU_DEP_2) | instskip(SKIP_1) | instid1(VALU_DEP_1)
	v_add_f64 v[52:53], v[54:55], v[52:53]
	v_mul_f64 v[54:55], v[106:107], s[20:21]
	v_add_f64 v[54:55], v[60:61], v[54:55]
	v_mul_f64 v[60:61], v[209:210], s[22:23]
	s_delay_alu instid0(VALU_DEP_2) | instskip(SKIP_1) | instid1(VALU_DEP_3)
	v_add_f64 v[54:55], v[54:55], v[56:57]
	v_add_f64 v[56:57], v[66:67], v[58:59]
	v_add_f64 v[60:61], v[60:61], -v[245:246]
	v_mul_f64 v[58:59], v[239:240], s[14:15]
	scratch_load_b64 v[66:67], off, off offset:440 ; 8-byte Folded Reload
	v_add_f64 v[52:53], v[52:53], v[54:55]
	v_add_f64 v[54:55], v[64:65], v[56:57]
	v_mul_f64 v[56:57], v[128:129], s[4:5]
	v_add_f64 v[58:59], v[58:59], -v[134:135]
	s_delay_alu instid0(VALU_DEP_4) | instskip(NEXT) | instid1(VALU_DEP_4)
	v_add_f64 v[46:47], v[46:47], v[52:53]
	v_add_f64 v[52:53], v[62:63], v[54:55]
	v_mul_f64 v[54:55], v[126:127], s[4:5]
	v_add_f64 v[56:57], v[171:172], v[56:57]
	scratch_load_b64 v[62:63], off, off offset:224 ; 8-byte Folded Reload
	v_add_f64 v[44:45], v[44:45], v[46:47]
	v_add_f64 v[46:47], v[60:61], v[52:53]
	v_add_f64 v[54:55], v[54:55], -v[167:168]
	v_mul_f64 v[52:53], v[165:166], s[18:19]
	scratch_load_b64 v[60:61], off, off offset:112 ; 8-byte Folded Reload
	v_add_f64 v[44:45], v[68:69], v[44:45]
	scratch_load_b64 v[68:69], off, off offset:432 ; 8-byte Folded Reload
	v_add_f64 v[46:47], v[58:59], v[46:47]
	v_mul_f64 v[58:59], v[163:164], s[18:19]
	v_add_f64 v[52:53], v[221:222], v[52:53]
	scratch_load_b64 v[64:65], off, off offset:320 ; 8-byte Folded Reload
	v_add_f64 v[44:45], v[56:57], v[44:45]
	scratch_load_b64 v[56:57], off, off offset:232 ; 8-byte Folded Reload
	v_add_f64 v[54:55], v[54:55], v[46:47]
	v_add_f64 v[58:59], v[58:59], -v[219:220]
	v_add_f64 v[46:47], v[52:53], v[44:45]
	v_mul_f64 v[52:53], v[181:182], s[14:15]
	s_delay_alu instid0(VALU_DEP_3)
	v_add_f64 v[44:45], v[58:59], v[54:55]
	s_clause 0x1
	scratch_load_b64 v[54:55], off, off offset:344
	scratch_load_b64 v[58:59], off, off offset:120
	s_waitcnt vmcnt(1)
	v_add_f64 v[52:53], v[54:55], v[52:53]
	v_mul_f64 v[54:55], v[148:149], s[10:11]
	s_delay_alu instid0(VALU_DEP_1) | instskip(SKIP_2) | instid1(VALU_DEP_1)
	v_add_f64 v[54:55], v[56:57], v[54:55]
	v_mul_f64 v[56:57], v[106:107], s[6:7]
	s_waitcnt vmcnt(0)
	v_add_f64 v[56:57], v[58:59], v[56:57]
	v_mul_f64 v[58:59], v[104:105], s[6:7]
	s_delay_alu instid0(VALU_DEP_2) | instskip(NEXT) | instid1(VALU_DEP_2)
	v_add_f64 v[48:49], v[56:57], v[48:49]
	v_add_f64 v[58:59], v[58:59], -v[60:61]
	v_mul_f64 v[60:61], v[144:145], s[10:11]
	v_mul_f64 v[56:57], v[239:240], s[18:19]
	s_delay_alu instid0(VALU_DEP_4) | instskip(NEXT) | instid1(VALU_DEP_4)
	v_add_f64 v[48:49], v[54:55], v[48:49]
	v_add_f64 v[50:51], v[58:59], v[50:51]
	s_delay_alu instid0(VALU_DEP_4)
	v_add_f64 v[60:61], v[60:61], -v[62:63]
	v_mul_f64 v[62:63], v[177:178], s[14:15]
	v_add_f64 v[56:57], v[56:57], -v[118:119]
	v_mul_f64 v[54:55], v[128:129], s[20:21]
	v_mul_f64 v[58:59], v[165:166], s[22:23]
	v_add_f64 v[48:49], v[52:53], v[48:49]
	v_mul_f64 v[52:53], v[126:127], s[20:21]
	v_add_f64 v[50:51], v[60:61], v[50:51]
	v_add_f64 v[62:63], v[62:63], -v[64:65]
	v_mul_f64 v[64:65], v[211:212], s[16:17]
	v_add_f64 v[54:55], v[156:157], v[54:55]
	v_add_f64 v[58:59], v[197:198], v[58:59]
	v_add_f64 v[52:53], v[52:53], -v[154:155]
	v_add_f64 v[50:51], v[62:63], v[50:51]
	v_add_f64 v[64:65], v[66:67], v[64:65]
	v_mul_f64 v[66:67], v[209:210], s[16:17]
	s_delay_alu instid0(VALU_DEP_2) | instskip(NEXT) | instid1(VALU_DEP_2)
	v_add_f64 v[48:49], v[64:65], v[48:49]
	v_add_f64 v[66:67], v[66:67], -v[68:69]
	v_mul_f64 v[68:69], v[241:242], s[18:19]
	s_delay_alu instid0(VALU_DEP_2) | instskip(NEXT) | instid1(VALU_DEP_2)
	v_add_f64 v[50:51], v[66:67], v[50:51]
	v_add_f64 v[68:69], v[120:121], v[68:69]
	s_delay_alu instid0(VALU_DEP_2) | instskip(NEXT) | instid1(VALU_DEP_2)
	v_add_f64 v[50:51], v[56:57], v[50:51]
	v_add_f64 v[48:49], v[68:69], v[48:49]
	v_mul_f64 v[56:57], v[163:164], s[22:23]
	s_delay_alu instid0(VALU_DEP_3) | instskip(NEXT) | instid1(VALU_DEP_3)
	v_add_f64 v[52:53], v[52:53], v[50:51]
	v_add_f64 v[48:49], v[54:55], v[48:49]
	s_delay_alu instid0(VALU_DEP_3) | instskip(NEXT) | instid1(VALU_DEP_2)
	v_add_f64 v[56:57], v[56:57], -v[193:194]
	v_add_f64 v[50:51], v[58:59], v[48:49]
	s_delay_alu instid0(VALU_DEP_2) | instskip(SKIP_3) | instid1(VALU_DEP_1)
	v_add_f64 v[48:49], v[56:57], v[52:53]
	scratch_load_b32 v52, off, off offset:4 ; 4-byte Folded Reload
	s_waitcnt vmcnt(0)
	v_and_b32_e32 v52, 0xffff, v52
	v_add_lshl_u32 v52, v235, v52, 4
	ds_store_b128 v52, v[32:35] offset:32
	ds_store_b128 v52, v[36:39] offset:48
	;; [unrolled: 1-line block ×15, first 2 shown]
	ds_store_b128 v52, v[24:27]
	ds_store_b128 v52, v[0:3] offset:256
.LBB0_7:
	s_or_b32 exec_lo, exec_lo, s24
	v_mov_b32_e32 v254, v227
	s_waitcnt lgkmcnt(0)
	s_waitcnt_vscnt null, 0x0
	s_barrier
	buffer_gl0_inv
	s_load_b64 s[10:11], s[0:1], 0x8
	v_add_lshl_u32 v255, v235, v254, 4
	v_cmp_gt_u16_e64 s0, 34, v254
	ds_load_b128 v[32:35], v255
	ds_load_b128 v[40:43], v255 offset:1088
	ds_load_b128 v[76:79], v255 offset:2720
	;; [unrolled: 1-line block ×7, first 2 shown]
	s_and_saveexec_b32 s1, s0
	s_cbranch_execz .LBB0_9
; %bb.8:
	ds_load_b128 v[96:99], v255 offset:2176
	ds_load_b128 v[100:103], v255 offset:4896
	ds_load_b128 v[92:95], v255 offset:7616
	ds_load_b128 v[88:91], v255 offset:10336
.LBB0_9:
	s_or_b32 exec_lo, exec_lo, s1
	v_and_b32_e32 v20, 0xff, v254
	v_add_nc_u16 v21, v254, 0x44
	v_add_nc_u16 v24, v254, 0x88
	s_delay_alu instid0(VALU_DEP_3) | instskip(NEXT) | instid1(VALU_DEP_3)
	v_mul_lo_u16 v20, 0xf1, v20
	v_and_b32_e32 v22, 0xff, v21
	s_delay_alu instid0(VALU_DEP_3) | instskip(NEXT) | instid1(VALU_DEP_3)
	v_and_b32_e32 v25, 0xff, v24
	v_lshrrev_b16 v132, 12, v20
	s_delay_alu instid0(VALU_DEP_3) | instskip(NEXT) | instid1(VALU_DEP_3)
	v_mul_lo_u16 v20, 0xf1, v22
	v_mul_lo_u16 v25, 0xf1, v25
	s_delay_alu instid0(VALU_DEP_3) | instskip(NEXT) | instid1(VALU_DEP_3)
	v_mul_lo_u16 v22, v132, 17
	v_lshrrev_b16 v133, 12, v20
	s_delay_alu instid0(VALU_DEP_3) | instskip(NEXT) | instid1(VALU_DEP_3)
	v_lshrrev_b16 v136, 12, v25
	v_sub_nc_u16 v20, v254, v22
	s_delay_alu instid0(VALU_DEP_3) | instskip(NEXT) | instid1(VALU_DEP_2)
	v_mul_lo_u16 v22, v133, 17
	v_and_b32_e32 v134, 0xff, v20
	s_delay_alu instid0(VALU_DEP_2) | instskip(SKIP_1) | instid1(VALU_DEP_2)
	v_sub_nc_u16 v22, v21, v22
	s_waitcnt lgkmcnt(0)
	v_mad_u64_u32 v[20:21], null, v134, 48, s[10:11]
	s_delay_alu instid0(VALU_DEP_2)
	v_and_b32_e32 v135, 0xff, v22
	s_clause 0x1
	global_load_b128 v[68:71], v[20:21], off
	global_load_b128 v[60:63], v[20:21], off offset:16
	v_mad_u64_u32 v[22:23], null, v135, 48, s[10:11]
	s_clause 0x3
	global_load_b128 v[56:59], v[20:21], off offset:32
	global_load_b128 v[52:55], v[22:23], off
	global_load_b128 v[48:51], v[22:23], off offset:16
	global_load_b128 v[36:39], v[22:23], off offset:32
	v_mul_lo_u16 v20, v136, 17
	s_delay_alu instid0(VALU_DEP_1) | instskip(NEXT) | instid1(VALU_DEP_1)
	v_sub_nc_u16 v20, v24, v20
	v_and_b32_e32 v22, 0xff, v20
	s_delay_alu instid0(VALU_DEP_1)
	v_mad_u64_u32 v[20:21], null, v22, 48, s[10:11]
	scratch_store_b32 off, v22, off offset:8 ; 4-byte Folded Spill
	s_clause 0x2
	global_load_b128 v[28:31], v[20:21], off
	global_load_b128 v[24:27], v[20:21], off offset:16
	global_load_b128 v[20:23], v[20:21], off offset:32
	s_load_b128 s[4:7], s[2:3], 0x0
	s_waitcnt vmcnt(8)
	v_mul_f64 v[104:105], v[78:79], v[70:71]
	v_mul_f64 v[106:107], v[76:77], v[70:71]
	s_waitcnt vmcnt(7)
	v_mul_f64 v[108:109], v[82:83], v[62:63]
	v_mul_f64 v[110:111], v[80:81], v[62:63]
	;; [unrolled: 3-line block ×7, first 2 shown]
	v_fma_f64 v[76:77], v[76:77], v[68:69], -v[104:105]
	v_fma_f64 v[78:79], v[78:79], v[68:69], v[106:107]
	v_fma_f64 v[80:81], v[80:81], v[60:61], -v[108:109]
	v_fma_f64 v[82:83], v[82:83], v[60:61], v[110:111]
	s_waitcnt vmcnt(1)
	v_mul_f64 v[104:105], v[94:95], v[26:27]
	v_mul_f64 v[106:107], v[92:93], v[26:27]
	s_waitcnt vmcnt(0)
	v_mul_f64 v[108:109], v[90:91], v[22:23]
	v_mul_f64 v[110:111], v[88:89], v[22:23]
	v_fma_f64 v[84:85], v[84:85], v[56:57], -v[112:113]
	v_fma_f64 v[86:87], v[86:87], v[56:57], v[114:115]
	v_fma_f64 v[44:45], v[44:45], v[52:53], -v[116:117]
	v_fma_f64 v[46:47], v[46:47], v[52:53], v[118:119]
	;; [unrolled: 2-line block ×5, first 2 shown]
	v_add_f64 v[80:81], v[32:33], -v[80:81]
	v_add_f64 v[82:83], v[34:35], -v[82:83]
	v_fma_f64 v[88:89], v[88:89], v[20:21], -v[108:109]
	v_fma_f64 v[90:91], v[90:91], v[20:21], v[110:111]
	v_add_f64 v[84:85], v[76:77], -v[84:85]
	v_add_f64 v[86:87], v[78:79], -v[86:87]
	;; [unrolled: 1-line block ×6, first 2 shown]
	v_fma_f64 v[72:73], v[92:93], v[24:25], -v[104:105]
	v_fma_f64 v[74:75], v[94:95], v[24:25], v[106:107]
	v_fma_f64 v[94:95], v[32:33], 2.0, -v[80:81]
	v_fma_f64 v[104:105], v[34:35], 2.0, -v[82:83]
	v_add_f64 v[110:111], v[100:101], -v[88:89]
	v_add_f64 v[88:89], v[102:103], -v[90:91]
	v_fma_f64 v[34:35], v[76:77], 2.0, -v[84:85]
	v_fma_f64 v[76:77], v[78:79], 2.0, -v[86:87]
	v_fma_f64 v[106:107], v[40:41], 2.0, -v[112:113]
	v_fma_f64 v[108:109], v[42:43], 2.0, -v[114:115]
	v_fma_f64 v[42:43], v[44:45], 2.0, -v[66:67]
	v_fma_f64 v[78:79], v[46:47], 2.0, -v[64:65]
	v_add_f64 v[32:33], v[96:97], -v[72:73]
	v_add_f64 v[40:41], v[98:99], -v[74:75]
	;; [unrolled: 1-line block ×3, first 2 shown]
	v_add_f64 v[46:47], v[82:83], v[84:85]
	v_add_f64 v[64:65], v[112:113], -v[64:65]
	v_add_f64 v[66:67], v[114:115], v[66:67]
	v_add_f64 v[72:73], v[94:95], -v[34:35]
	v_add_f64 v[74:75], v[104:105], -v[76:77]
	;; [unrolled: 1-line block ×4, first 2 shown]
	v_fma_f64 v[34:35], v[96:97], 2.0, -v[32:33]
	v_fma_f64 v[42:43], v[98:99], 2.0, -v[40:41]
	;; [unrolled: 1-line block ×4, first 2 shown]
	v_add_f64 v[92:93], v[32:33], -v[88:89]
	v_fma_f64 v[80:81], v[80:81], 2.0, -v[44:45]
	v_fma_f64 v[82:83], v[82:83], 2.0, -v[46:47]
	v_fma_f64 v[84:85], v[112:113], 2.0, -v[64:65]
	v_fma_f64 v[86:87], v[114:115], 2.0, -v[66:67]
	v_fma_f64 v[88:89], v[94:95], 2.0, -v[72:73]
	v_add_f64 v[94:95], v[40:41], v[110:111]
	v_fma_f64 v[90:91], v[104:105], 2.0, -v[74:75]
	v_and_b32_e32 v104, 0xffff, v132
	v_and_b32_e32 v105, 0xffff, v133
	v_fma_f64 v[100:101], v[106:107], 2.0, -v[76:77]
	v_fma_f64 v[102:103], v[108:109], 2.0, -v[78:79]
	s_delay_alu instid0(VALU_DEP_4) | instskip(NEXT) | instid1(VALU_DEP_4)
	v_mul_u32_u24_e32 v104, 0x44, v104
	v_mul_u32_u24_e32 v105, 0x44, v105
	v_add_f64 v[96:97], v[34:35], -v[96:97]
	v_add_f64 v[98:99], v[42:43], -v[98:99]
	v_and_b32_e32 v106, 0xffff, v136
	v_add_nc_u32_e32 v104, v104, v134
	v_add_nc_u32_e32 v105, v105, v135
	scratch_store_b32 off, v106, off offset:16 ; 4-byte Folded Spill
	v_add_lshl_u32 v253, v235, v104, 4
	v_add_lshl_u32 v252, v235, v105, 4
	s_waitcnt lgkmcnt(0)
	s_waitcnt_vscnt null, 0x0
	s_barrier
	buffer_gl0_inv
	ds_store_b128 v253, v[72:75] offset:544
	ds_store_b128 v253, v[44:47] offset:816
	ds_store_b128 v253, v[88:91]
	ds_store_b128 v253, v[80:83] offset:272
	ds_store_b128 v252, v[100:103]
	ds_store_b128 v252, v[84:87] offset:272
	ds_store_b128 v252, v[76:79] offset:544
	;; [unrolled: 1-line block ×3, first 2 shown]
	s_and_saveexec_b32 s1, s0
	s_cbranch_execz .LBB0_11
; %bb.10:
	v_fma_f64 v[66:67], v[42:43], 2.0, -v[98:99]
	v_fma_f64 v[42:43], v[32:33], 2.0, -v[92:93]
	s_clause 0x1
	scratch_load_b32 v32, off, off offset:16
	scratch_load_b32 v33, off, off offset:8
	v_fma_f64 v[64:65], v[34:35], 2.0, -v[96:97]
	v_fma_f64 v[44:45], v[40:41], 2.0, -v[94:95]
	s_waitcnt vmcnt(1)
	v_mul_u32_u24_e32 v32, 0x44, v32
	s_waitcnt vmcnt(0)
	s_delay_alu instid0(VALU_DEP_1) | instskip(NEXT) | instid1(VALU_DEP_1)
	v_add_nc_u32_e32 v32, v32, v33
	v_add_lshl_u32 v32, v235, v32, 4
	ds_store_b128 v32, v[64:67]
	ds_store_b128 v32, v[42:45] offset:272
	ds_store_b128 v32, v[96:99] offset:544
	;; [unrolled: 1-line block ×3, first 2 shown]
.LBB0_11:
	s_or_b32 exec_lo, exec_lo, s1
	v_mad_u64_u32 v[40:41], null, 0x90, v254, s[10:11]
	s_waitcnt lgkmcnt(0)
	s_barrier
	buffer_gl0_inv
	s_mov_b32 s10, 0x134454ff
	s_mov_b32 s11, 0x3fee6f0e
	;; [unrolled: 1-line block ×3, first 2 shown]
	s_clause 0x8
	global_load_b128 v[76:79], v[40:41], off offset:848
	global_load_b128 v[84:87], v[40:41], off offset:880
	;; [unrolled: 1-line block ×9, first 2 shown]
	ds_load_b128 v[100:103], v255 offset:3264
	ds_load_b128 v[104:107], v255 offset:5440
	;; [unrolled: 1-line block ×6, first 2 shown]
	s_mov_b32 s2, s10
	s_mov_b32 s16, 0x4755a5e
	;; [unrolled: 1-line block ×9, first 2 shown]
	s_waitcnt vmcnt(8) lgkmcnt(5)
	v_mul_f64 v[124:125], v[102:103], v[78:79]
	s_waitcnt vmcnt(7) lgkmcnt(4)
	v_mul_f64 v[128:129], v[106:107], v[86:87]
	;; [unrolled: 2-line block ×4, first 2 shown]
	v_mul_f64 v[126:127], v[100:101], v[78:79]
	v_mul_f64 v[130:131], v[104:105], v[86:87]
	;; [unrolled: 1-line block ×4, first 2 shown]
	s_waitcnt vmcnt(4) lgkmcnt(1)
	v_mul_f64 v[140:141], v[118:119], v[34:35]
	v_mul_f64 v[142:143], v[116:117], v[34:35]
	v_fma_f64 v[124:125], v[100:101], v[76:77], -v[124:125]
	v_fma_f64 v[128:129], v[104:105], v[84:85], -v[128:129]
	v_fma_f64 v[114:115], v[114:115], v[88:89], v[134:135]
	v_fma_f64 v[134:135], v[108:109], v[80:81], -v[138:139]
	v_fma_f64 v[126:127], v[102:103], v[76:77], v[126:127]
	v_fma_f64 v[130:131], v[106:107], v[84:85], v[130:131]
	;; [unrolled: 1-line block ×3, first 2 shown]
	ds_load_b128 v[100:103], v255 offset:4352
	ds_load_b128 v[104:107], v255 offset:6528
	;; [unrolled: 1-line block ×3, first 2 shown]
	v_fma_f64 v[112:113], v[112:113], v[88:89], -v[136:137]
	s_waitcnt vmcnt(3) lgkmcnt(3)
	v_mul_f64 v[136:137], v[122:123], v[74:75]
	v_fma_f64 v[116:117], v[116:117], v[32:33], -v[140:141]
	v_mul_f64 v[138:139], v[120:121], v[74:75]
	v_fma_f64 v[118:119], v[118:119], v[32:33], v[142:143]
	s_waitcnt vmcnt(2) lgkmcnt(2)
	v_mul_f64 v[144:145], v[102:103], v[66:67]
	s_waitcnt vmcnt(1) lgkmcnt(1)
	v_mul_f64 v[148:149], v[106:107], v[46:47]
	s_waitcnt vmcnt(0) lgkmcnt(0)
	v_mul_f64 v[150:151], v[110:111], v[42:43]
	v_mul_f64 v[154:155], v[108:109], v[42:43]
	v_mul_f64 v[146:147], v[100:101], v[66:67]
	;; [unrolled: 1-line block ×3, first 2 shown]
	v_add_f64 v[165:166], v[124:125], -v[128:129]
	v_add_f64 v[169:170], v[128:129], -v[124:125]
	v_add_f64 v[158:159], v[128:129], v[134:135]
	v_add_f64 v[142:143], v[126:127], v[114:115]
	v_add_f64 v[173:174], v[126:127], -v[130:131]
	v_add_f64 v[140:141], v[130:131], v[132:133]
	v_add_f64 v[175:176], v[114:115], -v[132:133]
	v_add_f64 v[156:157], v[124:125], v[112:113]
	v_fma_f64 v[120:121], v[120:121], v[72:73], -v[136:137]
	v_add_f64 v[167:168], v[112:113], -v[134:135]
	v_fma_f64 v[122:123], v[122:123], v[72:73], v[138:139]
	v_add_f64 v[171:172], v[134:135], -v[112:113]
	v_add_f64 v[177:178], v[130:131], -v[126:127]
	;; [unrolled: 1-line block ×3, first 2 shown]
	v_fma_f64 v[136:137], v[100:101], v[64:65], -v[144:145]
	v_fma_f64 v[104:105], v[104:105], v[44:45], -v[148:149]
	;; [unrolled: 1-line block ×3, first 2 shown]
	v_fma_f64 v[110:111], v[110:111], v[40:41], v[154:155]
	v_add_f64 v[144:145], v[126:127], -v[114:115]
	v_fma_f64 v[138:139], v[102:103], v[64:65], v[146:147]
	v_fma_f64 v[106:107], v[106:107], v[44:45], v[152:153]
	v_add_f64 v[146:147], v[130:131], -v[132:133]
	v_add_f64 v[148:149], v[124:125], -v[112:113]
	v_add_f64 v[150:151], v[128:129], -v[134:135]
	ds_load_b128 v[100:103], v255
	v_fma_f64 v[154:155], v[158:159], -0.5, v[116:117]
	v_fma_f64 v[142:143], v[142:143], -0.5, v[118:119]
	;; [unrolled: 1-line block ×3, first 2 shown]
	v_add_f64 v[118:119], v[118:119], v[126:127]
	v_fma_f64 v[152:153], v[156:157], -0.5, v[116:117]
	v_add_f64 v[116:117], v[116:117], v[124:125]
	s_waitcnt lgkmcnt(0)
	v_add_f64 v[189:190], v[100:101], v[120:121]
	v_add_f64 v[195:196], v[102:103], v[122:123]
	;; [unrolled: 1-line block ×4, first 2 shown]
	v_add_f64 v[191:192], v[122:123], -v[110:111]
	v_add_f64 v[163:164], v[122:123], v[110:111]
	v_add_f64 v[197:198], v[120:121], -v[108:109]
	v_add_f64 v[161:162], v[138:139], v[106:107]
	v_add_f64 v[193:194], v[138:139], -v[106:107]
	v_add_f64 v[199:200], v[136:137], -v[104:105]
	v_fma_f64 v[187:188], v[144:145], s[2:3], v[154:155]
	v_fma_f64 v[183:184], v[150:151], s[10:11], v[142:143]
	;; [unrolled: 1-line block ×8, first 2 shown]
	v_add_f64 v[116:117], v[116:117], v[128:129]
	v_add_f64 v[118:119], v[118:119], v[130:131]
	v_fma_f64 v[124:125], v[156:157], -0.5, v[100:101]
	v_fma_f64 v[100:101], v[158:159], -0.5, v[100:101]
	v_add_f64 v[156:157], v[165:166], v[167:168]
	v_add_f64 v[158:159], v[169:170], v[171:172]
	v_fma_f64 v[126:127], v[161:162], -0.5, v[102:103]
	v_add_f64 v[161:162], v[173:174], v[175:176]
	v_add_f64 v[173:174], v[110:111], -v[106:107]
	v_fma_f64 v[102:103], v[163:164], -0.5, v[102:103]
	v_add_f64 v[163:164], v[177:178], v[179:180]
	v_add_f64 v[175:176], v[106:107], -v[110:111]
	v_fma_f64 v[171:172], v[146:147], s[14:15], v[187:188]
	v_fma_f64 v[167:168], v[148:149], s[14:15], v[183:184]
	;; [unrolled: 1-line block ×6, first 2 shown]
	v_add_f64 v[148:149], v[120:121], -v[136:137]
	v_add_f64 v[150:151], v[108:109], -v[104:105]
	;; [unrolled: 1-line block ×3, first 2 shown]
	v_fma_f64 v[169:170], v[144:145], s[14:15], v[185:186]
	v_fma_f64 v[144:145], v[144:145], s[16:17], v[152:153]
	v_add_f64 v[120:121], v[136:137], -v[120:121]
	v_add_f64 v[152:153], v[104:105], -v[108:109]
	;; [unrolled: 1-line block ×3, first 2 shown]
	v_add_f64 v[136:137], v[189:190], v[136:137]
	v_add_f64 v[138:139], v[195:196], v[138:139]
	;; [unrolled: 1-line block ×4, first 2 shown]
	v_fma_f64 v[128:129], v[191:192], s[10:11], v[124:125]
	v_fma_f64 v[124:125], v[191:192], s[2:3], v[124:125]
	;; [unrolled: 1-line block ×14, first 2 shown]
	v_add_f64 v[148:149], v[148:149], v[150:151]
	v_add_f64 v[150:151], v[154:155], v[173:174]
	v_fma_f64 v[169:170], v[158:159], s[18:19], v[169:170]
	v_fma_f64 v[144:145], v[158:159], s[18:19], v[144:145]
	v_add_f64 v[120:121], v[120:121], v[152:153]
	v_add_f64 v[122:123], v[122:123], v[175:176]
	;; [unrolled: 1-line block ×4, first 2 shown]
	v_fma_f64 v[128:129], v[193:194], s[16:17], v[128:129]
	v_fma_f64 v[124:125], v[193:194], s[14:15], v[124:125]
	;; [unrolled: 1-line block ×8, first 2 shown]
	v_mul_f64 v[154:155], v[171:172], s[20:21]
	v_mul_f64 v[138:139], v[167:168], s[10:11]
	;; [unrolled: 1-line block ×8, first 2 shown]
	v_add_f64 v[104:105], v[104:105], v[108:109]
	v_add_f64 v[106:107], v[106:107], v[110:111]
	;; [unrolled: 1-line block ×4, first 2 shown]
	v_fma_f64 v[128:129], v[148:149], s[18:19], v[128:129]
	v_fma_f64 v[124:125], v[148:149], s[18:19], v[124:125]
	;; [unrolled: 1-line block ×8, first 2 shown]
	v_fma_f64 v[140:141], v[140:141], s[16:17], -v[154:155]
	v_fma_f64 v[132:133], v[146:147], s[20:21], v[136:137]
	v_fma_f64 v[136:137], v[144:145], s[18:19], v[138:139]
	v_fma_f64 v[146:147], v[169:170], s[2:3], -v[161:162]
	v_fma_f64 v[138:139], v[142:143], s[10:11], -v[152:153]
	v_fma_f64 v[142:143], v[165:166], s[20:21], v[156:157]
	v_fma_f64 v[144:145], v[167:168], s[18:19], v[158:159]
	v_fma_f64 v[152:153], v[171:172], s[14:15], -v[163:164]
	v_add_f64 v[100:101], v[104:105], v[108:109]
	v_add_f64 v[102:103], v[106:107], v[110:111]
	v_add_f64 v[112:113], v[104:105], -v[108:109]
	v_add_f64 v[114:115], v[106:107], -v[110:111]
	v_add_f64 v[120:121], v[124:125], v[140:141]
	v_add_f64 v[124:125], v[124:125], -v[140:141]
	scratch_load_b32 v140, off, off         ; 4-byte Folded Reload
	v_add_f64 v[104:105], v[128:129], v[132:133]
	v_add_f64 v[108:109], v[130:131], v[136:137]
	;; [unrolled: 1-line block ×3, first 2 shown]
	v_add_f64 v[128:129], v[128:129], -v[132:133]
	v_add_f64 v[132:133], v[130:131], -v[136:137]
	v_add_f64 v[116:117], v[148:149], v[138:139]
	v_add_f64 v[106:107], v[173:174], v[142:143]
	;; [unrolled: 1-line block ×4, first 2 shown]
	v_add_f64 v[136:137], v[148:149], -v[138:139]
	v_add_f64 v[130:131], v[173:174], -v[142:143]
	;; [unrolled: 1-line block ×5, first 2 shown]
	s_waitcnt vmcnt(0)
	v_lshl_add_u32 v251, v254, 4, v140
	ds_store_b128 v251, v[100:103]
	ds_store_b128 v251, v[104:107] offset:1088
	ds_store_b128 v251, v[108:111] offset:2176
	;; [unrolled: 1-line block ×9, first 2 shown]
	s_waitcnt lgkmcnt(0)
	s_barrier
	buffer_gl0_inv
	s_and_saveexec_b32 s10, vcc_lo
	s_cbranch_execz .LBB0_13
; %bb.12:
	v_lshlrev_b32_e32 v213, 4, v254
	s_add_u32 s2, s8, 0x2a80
	s_addc_u32 s3, s9, 0
	s_clause 0x6
	global_load_b128 v[140:143], v213, s[2:3]
	global_load_b128 v[144:147], v213, s[2:3] offset:640
	global_load_b128 v[148:151], v213, s[2:3] offset:1280
	;; [unrolled: 1-line block ×6, first 2 shown]
	ds_load_b128 v[169:172], v251
	ds_load_b128 v[173:176], v251 offset:640
	v_add_co_u32 v205, s1, s2, v213
	s_delay_alu instid0(VALU_DEP_1) | instskip(NEXT) | instid1(VALU_DEP_2)
	v_add_co_ci_u32_e64 v206, null, s3, 0, s1
	v_add_co_u32 v193, s1, 0x1000, v205
	s_delay_alu instid0(VALU_DEP_1) | instskip(SKIP_3) | instid1(VALU_DEP_2)
	v_add_co_ci_u32_e64 v194, s1, 0, v206, s1
	s_waitcnt vmcnt(6) lgkmcnt(1)
	v_mul_f64 v[177:178], v[171:172], v[142:143]
	v_mul_f64 v[142:143], v[169:170], v[142:143]
	v_fma_f64 v[169:170], v[169:170], v[140:141], -v[177:178]
	s_waitcnt vmcnt(5) lgkmcnt(0)
	v_mul_f64 v[177:178], v[175:176], v[146:147]
	v_mul_f64 v[146:147], v[173:174], v[146:147]
	s_delay_alu instid0(VALU_DEP_4)
	v_fma_f64 v[171:172], v[171:172], v[140:141], v[142:143]
	ds_load_b128 v[140:143], v251 offset:1280
	v_fma_f64 v[173:174], v[173:174], v[144:145], -v[177:178]
	v_fma_f64 v[175:176], v[175:176], v[144:145], v[146:147]
	ds_load_b128 v[144:147], v251 offset:1920
	s_waitcnt vmcnt(4) lgkmcnt(1)
	v_mul_f64 v[177:178], v[142:143], v[150:151]
	v_mul_f64 v[150:151], v[140:141], v[150:151]
	s_delay_alu instid0(VALU_DEP_2) | instskip(SKIP_3) | instid1(VALU_DEP_4)
	v_fma_f64 v[140:141], v[140:141], v[148:149], -v[177:178]
	s_waitcnt vmcnt(3) lgkmcnt(0)
	v_mul_f64 v[177:178], v[146:147], v[154:155]
	v_mul_f64 v[154:155], v[144:145], v[154:155]
	v_fma_f64 v[142:143], v[142:143], v[148:149], v[150:151]
	ds_load_b128 v[148:151], v251 offset:2560
	v_fma_f64 v[144:145], v[144:145], v[152:153], -v[177:178]
	v_fma_f64 v[146:147], v[146:147], v[152:153], v[154:155]
	ds_load_b128 v[152:155], v251 offset:3200
	s_waitcnt vmcnt(2) lgkmcnt(1)
	v_mul_f64 v[177:178], v[150:151], v[158:159]
	v_mul_f64 v[158:159], v[148:149], v[158:159]
	s_delay_alu instid0(VALU_DEP_2) | instskip(SKIP_3) | instid1(VALU_DEP_4)
	v_fma_f64 v[148:149], v[148:149], v[156:157], -v[177:178]
	s_waitcnt vmcnt(1) lgkmcnt(0)
	v_mul_f64 v[177:178], v[154:155], v[163:164]
	v_mul_f64 v[163:164], v[152:153], v[163:164]
	v_fma_f64 v[150:151], v[150:151], v[156:157], v[158:159]
	ds_load_b128 v[156:159], v251 offset:3840
	v_fma_f64 v[152:153], v[152:153], v[161:162], -v[177:178]
	v_fma_f64 v[154:155], v[154:155], v[161:162], v[163:164]
	ds_load_b128 v[161:164], v251 offset:4480
	s_waitcnt vmcnt(0) lgkmcnt(1)
	v_mul_f64 v[177:178], v[158:159], v[167:168]
	v_mul_f64 v[167:168], v[156:157], v[167:168]
	s_delay_alu instid0(VALU_DEP_2) | instskip(NEXT) | instid1(VALU_DEP_2)
	v_fma_f64 v[156:157], v[156:157], v[165:166], -v[177:178]
	v_fma_f64 v[158:159], v[158:159], v[165:166], v[167:168]
	v_or_b32_e32 v165, 0x1400, v213
	global_load_b128 v[165:168], v165, s[2:3]
	ds_load_b128 v[177:180], v251 offset:5120
	ds_load_b128 v[181:184], v251 offset:5760
	global_load_b128 v[185:188], v[193:194], off offset:3584
	s_waitcnt vmcnt(1) lgkmcnt(1)
	v_mul_f64 v[189:190], v[179:180], v[167:168]
	v_mul_f64 v[167:168], v[177:178], v[167:168]
	s_delay_alu instid0(VALU_DEP_2) | instskip(NEXT) | instid1(VALU_DEP_2)
	v_fma_f64 v[177:178], v[177:178], v[165:166], -v[189:190]
	v_fma_f64 v[179:180], v[179:180], v[165:166], v[167:168]
	s_clause 0x1
	global_load_b128 v[165:168], v[193:194], off offset:384
	global_load_b128 v[189:192], v[193:194], off offset:1664
	s_waitcnt vmcnt(1)
	v_mul_f64 v[195:196], v[163:164], v[167:168]
	v_mul_f64 v[167:168], v[161:162], v[167:168]
	s_delay_alu instid0(VALU_DEP_2) | instskip(NEXT) | instid1(VALU_DEP_2)
	v_fma_f64 v[161:162], v[161:162], v[165:166], -v[195:196]
	v_fma_f64 v[163:164], v[163:164], v[165:166], v[167:168]
	s_waitcnt vmcnt(0) lgkmcnt(0)
	v_mul_f64 v[165:166], v[183:184], v[191:192]
	v_mul_f64 v[167:168], v[181:182], v[191:192]
	s_delay_alu instid0(VALU_DEP_2) | instskip(NEXT) | instid1(VALU_DEP_2)
	v_fma_f64 v[165:166], v[181:182], v[189:190], -v[165:166]
	v_fma_f64 v[167:168], v[183:184], v[189:190], v[167:168]
	s_clause 0x1
	global_load_b128 v[181:184], v[193:194], off offset:2304
	global_load_b128 v[189:192], v[193:194], off offset:2944
	ds_load_b128 v[193:196], v251 offset:6400
	ds_load_b128 v[197:200], v251 offset:7040
	s_waitcnt vmcnt(1) lgkmcnt(1)
	v_mul_f64 v[201:202], v[195:196], v[183:184]
	v_mul_f64 v[183:184], v[193:194], v[183:184]
	s_delay_alu instid0(VALU_DEP_2) | instskip(NEXT) | instid1(VALU_DEP_2)
	v_fma_f64 v[193:194], v[193:194], v[181:182], -v[201:202]
	v_fma_f64 v[195:196], v[195:196], v[181:182], v[183:184]
	s_waitcnt vmcnt(0) lgkmcnt(0)
	v_mul_f64 v[181:182], v[199:200], v[191:192]
	v_mul_f64 v[183:184], v[197:198], v[191:192]
	s_delay_alu instid0(VALU_DEP_2) | instskip(NEXT) | instid1(VALU_DEP_2)
	v_fma_f64 v[181:182], v[197:198], v[189:190], -v[181:182]
	v_fma_f64 v[183:184], v[199:200], v[189:190], v[183:184]
	ds_load_b128 v[189:192], v251 offset:7680
	ds_load_b128 v[197:200], v251 offset:8320
	s_waitcnt lgkmcnt(1)
	v_mul_f64 v[201:202], v[191:192], v[187:188]
	v_mul_f64 v[203:204], v[189:190], v[187:188]
	s_delay_alu instid0(VALU_DEP_2) | instskip(NEXT) | instid1(VALU_DEP_2)
	v_fma_f64 v[187:188], v[189:190], v[185:186], -v[201:202]
	v_fma_f64 v[189:190], v[191:192], v[185:186], v[203:204]
	v_add_co_u32 v185, s1, 0x2000, v205
	s_delay_alu instid0(VALU_DEP_1)
	v_add_co_ci_u32_e64 v186, s1, 0, v206, s1
	s_clause 0x1
	global_load_b128 v[201:204], v[185:186], off offset:128
	global_load_b128 v[205:208], v[185:186], off offset:768
	s_waitcnt vmcnt(1) lgkmcnt(0)
	v_mul_f64 v[191:192], v[199:200], v[203:204]
	v_mul_f64 v[203:204], v[197:198], v[203:204]
	s_delay_alu instid0(VALU_DEP_2) | instskip(NEXT) | instid1(VALU_DEP_2)
	v_fma_f64 v[197:198], v[197:198], v[201:202], -v[191:192]
	v_fma_f64 v[199:200], v[199:200], v[201:202], v[203:204]
	ds_load_b128 v[201:204], v251 offset:8960
	ds_load_b128 v[209:212], v251 offset:9600
	s_waitcnt vmcnt(0) lgkmcnt(1)
	v_mul_f64 v[191:192], v[203:204], v[207:208]
	v_mul_f64 v[207:208], v[201:202], v[207:208]
	s_delay_alu instid0(VALU_DEP_2) | instskip(SKIP_1) | instid1(VALU_DEP_3)
	v_fma_f64 v[201:202], v[201:202], v[205:206], -v[191:192]
	v_or_b32_e32 v191, 0x2800, v213
	v_fma_f64 v[203:204], v[203:204], v[205:206], v[207:208]
	s_clause 0x1
	global_load_b128 v[205:208], v[185:186], off offset:1408
	global_load_b128 v[213:216], v191, s[2:3]
	ds_load_b128 v[217:220], v251 offset:10240
	s_waitcnt vmcnt(1) lgkmcnt(1)
	v_mul_f64 v[185:186], v[211:212], v[207:208]
	v_mul_f64 v[191:192], v[209:210], v[207:208]
	s_delay_alu instid0(VALU_DEP_2) | instskip(NEXT) | instid1(VALU_DEP_2)
	v_fma_f64 v[207:208], v[209:210], v[205:206], -v[185:186]
	v_fma_f64 v[209:210], v[211:212], v[205:206], v[191:192]
	s_waitcnt vmcnt(0) lgkmcnt(0)
	v_mul_f64 v[185:186], v[219:220], v[215:216]
	v_mul_f64 v[191:192], v[217:218], v[215:216]
	s_delay_alu instid0(VALU_DEP_2) | instskip(NEXT) | instid1(VALU_DEP_2)
	v_fma_f64 v[211:212], v[217:218], v[213:214], -v[185:186]
	v_fma_f64 v[213:214], v[219:220], v[213:214], v[191:192]
	ds_store_b128 v251, v[169:172]
	ds_store_b128 v251, v[173:176] offset:640
	ds_store_b128 v251, v[140:143] offset:1280
	;; [unrolled: 1-line block ×16, first 2 shown]
.LBB0_13:
	s_or_b32 exec_lo, exec_lo, s10
	s_waitcnt lgkmcnt(0)
	s_barrier
	buffer_gl0_inv
	s_and_saveexec_b32 s1, vcc_lo
	s_cbranch_execz .LBB0_15
; %bb.14:
	ds_load_b128 v[100:103], v251
	ds_load_b128 v[104:107], v251 offset:640
	ds_load_b128 v[108:111], v251 offset:1280
	ds_load_b128 v[116:119], v251 offset:1920
	ds_load_b128 v[120:123], v251 offset:2560
	ds_load_b128 v[112:115], v251 offset:3200
	ds_load_b128 v[128:131], v251 offset:3840
	ds_load_b128 v[132:135], v251 offset:4480
	ds_load_b128 v[136:139], v251 offset:5120
	ds_load_b128 v[124:127], v251 offset:5760
	ds_load_b128 v[96:99], v251 offset:6400
	ds_load_b128 v[92:95], v251 offset:7040
	ds_load_b128 v[16:19], v251 offset:7680
	ds_load_b128 v[12:15], v251 offset:8320
	ds_load_b128 v[8:11], v251 offset:8960
	ds_load_b128 v[4:7], v251 offset:9600
	ds_load_b128 v[0:3], v251 offset:10240
.LBB0_15:
	s_or_b32 exec_lo, exec_lo, s1
	s_waitcnt lgkmcnt(0)
	v_add_f64 v[195:196], v[106:107], -v[2:3]
	s_mov_b32 s10, 0x6c9a05f6
	s_mov_b32 s11, 0xbfe9895b
	v_add_f64 v[189:190], v[0:1], v[104:105]
	v_add_f64 v[158:159], v[110:111], -v[6:7]
	s_mov_b32 s2, 0x6ed5f1bb
	s_mov_b32 s16, 0x923c349f
	;; [unrolled: 1-line block ×4, first 2 shown]
	v_add_f64 v[156:157], v[4:5], v[108:109]
	v_add_f64 v[161:162], v[6:7], v[110:111]
	s_mov_b32 s14, 0xc61f0d01
	s_mov_b32 s15, 0xbfd183b1
	v_add_f64 v[229:230], v[2:3], v[106:107]
	v_add_f64 v[231:232], v[104:105], -v[0:1]
	v_add_f64 v[167:168], v[108:109], -v[4:5]
	;; [unrolled: 1-line block ×3, first 2 shown]
	s_mov_b32 s22, 0x5d8e7cdc
	s_mov_b32 s23, 0x3fd71e95
	;; [unrolled: 1-line block ×4, first 2 shown]
	v_add_f64 v[163:164], v[116:117], v[8:9]
	s_mov_b32 s18, 0x370991
	s_mov_b32 s44, 0x7c9e640b
	;; [unrolled: 1-line block ×4, first 2 shown]
	v_add_f64 v[169:170], v[118:119], v[10:11]
	v_add_f64 v[175:176], v[116:117], -v[8:9]
	v_add_f64 v[173:174], v[122:123], -v[14:15]
	s_mov_b32 s24, 0x4363dd80
	s_mov_b32 s25, 0xbfe0d888
	v_add_f64 v[171:172], v[120:121], v[12:13]
	s_mov_b32 s20, 0x910ea3b9
	s_mov_b32 s42, 0x2b2883cd
	;; [unrolled: 1-line block ×4, first 2 shown]
	v_add_f64 v[177:178], v[122:123], v[14:15]
	v_add_f64 v[183:184], v[120:121], -v[12:13]
	v_mul_f64 v[140:141], v[195:196], s[10:11]
	v_add_f64 v[181:182], v[114:115], -v[18:19]
	s_mov_b32 s30, 0xeb564b22
	s_mov_b32 s31, 0xbfefdd0d
	v_mul_f64 v[142:143], v[158:159], s[16:17]
	v_mul_f64 v[146:147], v[158:159], s[44:45]
	s_mov_b32 s53, 0x3fefdd0d
	s_mov_b32 s52, s30
	v_add_f64 v[179:180], v[16:17], v[112:113]
	s_mov_b32 s26, 0x3259b75e
	v_mul_f64 v[144:145], v[161:162], s[14:15]
	v_mul_f64 v[148:149], v[161:162], s[42:43]
	s_mov_b32 s27, 0x3fb79ee6
	v_add_f64 v[185:186], v[18:19], v[114:115]
	v_add_f64 v[193:194], v[112:113], -v[16:17]
	v_add_f64 v[191:192], v[130:131], -v[94:95]
	s_mov_b32 s48, 0x2a9d6da3
	s_mov_b32 s49, 0x3fe58eea
	;; [unrolled: 1-line block ×4, first 2 shown]
	v_add_f64 v[187:188], v[92:93], v[128:129]
	s_mov_b32 s34, 0x75d4884
	s_mov_b32 s35, 0x3fe7a5f6
	v_add_f64 v[197:198], v[94:95], v[130:131]
	v_add_f64 v[209:210], v[128:129], -v[92:93]
	v_add_f64 v[207:208], v[134:135], -v[98:99]
	s_mov_b32 s40, 0xacd6c6b4
	s_mov_b32 s41, 0xbfc7851a
	v_add_f64 v[199:200], v[132:133], v[96:97]
	s_mov_b32 s36, 0x7faef3
	s_mov_b32 s37, 0xbfef7484
	v_add_f64 v[203:204], v[134:135], v[98:99]
	v_add_f64 v[217:218], v[132:133], -v[96:97]
	v_add_f64 v[215:216], v[138:139], -v[126:127]
	v_add_f64 v[205:206], v[136:137], v[124:125]
	v_add_f64 v[211:212], v[138:139], v[126:127]
	v_add_f64 v[219:220], v[136:137], -v[124:125]
	s_mov_b32 s59, 0x3fe9895b
	scratch_store_b64 off, v[140:141], off offset:32 ; 8-byte Folded Spill
	v_fma_f64 v[140:141], v[189:190], s[2:3], -v[140:141]
	s_mov_b32 s58, s10
	s_mov_b32 s47, 0xbfeec746
	scratch_store_b64 off, v[142:143], off offset:40 ; 8-byte Folded Spill
	v_fma_f64 v[142:143], v[156:157], s[14:15], -v[142:143]
	s_mov_b32 s46, s16
	v_mul_f64 v[152:153], v[195:196], s[40:41]
	v_mul_f64 v[154:155], v[158:159], s[22:23]
	;; [unrolled: 1-line block ×3, first 2 shown]
	scratch_store_b64 off, v[144:145], off offset:48 ; 8-byte Folded Spill
	v_fma_f64 v[144:145], v[167:168], s[16:17], v[144:145]
	s_mov_b32 s57, 0x3fc7851a
	s_mov_b32 s56, s40
	v_mul_f64 v[213:214], v[161:162], s[18:19]
	s_mov_b32 s55, 0x3fe0d888
	s_mov_b32 s54, s24
	;; [unrolled: 1-line block ×4, first 2 shown]
	scratch_store_b64 off, v[146:147], off offset:160 ; 8-byte Folded Spill
	v_fma_f64 v[146:147], v[156:157], s[42:43], -v[146:147]
	scratch_store_b64 off, v[148:149], off offset:176 ; 8-byte Folded Spill
	v_fma_f64 v[148:149], v[167:168], s[44:45], v[148:149]
	v_add_f64 v[140:141], v[100:101], v[140:141]
	v_fma_f64 v[150:151], v[156:157], s[18:19], v[154:155]
	v_fma_f64 v[154:155], v[156:157], s[18:19], -v[154:155]
	v_fma_f64 v[221:222], v[167:168], s[28:29], v[213:214]
	s_delay_alu instid0(VALU_DEP_4) | instskip(SKIP_3) | instid1(VALU_DEP_1)
	v_add_f64 v[140:141], v[142:143], v[140:141]
	v_mul_f64 v[142:143], v[229:230], s[2:3]
	scratch_store_b64 off, v[142:143], off offset:80 ; 8-byte Folded Spill
	v_fma_f64 v[142:143], v[231:232], s[10:11], v[142:143]
	v_add_f64 v[142:143], v[102:103], v[142:143]
	s_delay_alu instid0(VALU_DEP_1) | instskip(SKIP_3) | instid1(VALU_DEP_1)
	v_add_f64 v[142:143], v[144:145], v[142:143]
	v_mul_f64 v[144:145], v[165:166], s[28:29]
	scratch_store_b64 off, v[144:145], off offset:56 ; 8-byte Folded Spill
	v_fma_f64 v[144:145], v[163:164], s[18:19], -v[144:145]
	v_add_f64 v[140:141], v[144:145], v[140:141]
	v_mul_f64 v[144:145], v[169:170], s[18:19]
	scratch_store_b64 off, v[144:145], off offset:72 ; 8-byte Folded Spill
	v_fma_f64 v[144:145], v[175:176], s[28:29], v[144:145]
	s_delay_alu instid0(VALU_DEP_1) | instskip(SKIP_3) | instid1(VALU_DEP_1)
	v_add_f64 v[142:143], v[144:145], v[142:143]
	v_mul_f64 v[144:145], v[173:174], s[24:25]
	scratch_store_b64 off, v[144:145], off offset:64 ; 8-byte Folded Spill
	v_fma_f64 v[144:145], v[171:172], s[20:21], -v[144:145]
	v_add_f64 v[140:141], v[144:145], v[140:141]
	v_mul_f64 v[144:145], v[177:178], s[20:21]
	scratch_store_b64 off, v[144:145], off offset:96 ; 8-byte Folded Spill
	v_fma_f64 v[144:145], v[183:184], s[24:25], v[144:145]
	;; [unrolled: 9-line block ×6, first 2 shown]
	s_delay_alu instid0(VALU_DEP_1) | instskip(SKIP_3) | instid1(VALU_DEP_1)
	v_add_f64 v[142:143], v[144:145], v[142:143]
	v_mul_f64 v[144:145], v[195:196], s[24:25]
	scratch_store_b64 off, v[144:145], off offset:272 ; 8-byte Folded Spill
	v_fma_f64 v[144:145], v[189:190], s[20:21], -v[144:145]
	v_add_f64 v[144:145], v[100:101], v[144:145]
	s_delay_alu instid0(VALU_DEP_1) | instskip(SKIP_3) | instid1(VALU_DEP_1)
	v_add_f64 v[144:145], v[146:147], v[144:145]
	v_mul_f64 v[146:147], v[229:230], s[20:21]
	scratch_store_b64 off, v[146:147], off offset:280 ; 8-byte Folded Spill
	v_fma_f64 v[146:147], v[231:232], s[24:25], v[146:147]
	v_add_f64 v[146:147], v[102:103], v[146:147]
	s_delay_alu instid0(VALU_DEP_1) | instskip(SKIP_3) | instid1(VALU_DEP_1)
	v_add_f64 v[146:147], v[148:149], v[146:147]
	v_mul_f64 v[148:149], v[165:166], s[30:31]
	scratch_store_b64 off, v[148:149], off offset:168 ; 8-byte Folded Spill
	v_fma_f64 v[148:149], v[163:164], s[26:27], -v[148:149]
	v_add_f64 v[144:145], v[148:149], v[144:145]
	v_mul_f64 v[148:149], v[169:170], s[26:27]
	scratch_store_b64 off, v[148:149], off offset:208 ; 8-byte Folded Spill
	v_fma_f64 v[148:149], v[175:176], s[30:31], v[148:149]
	s_delay_alu instid0(VALU_DEP_1) | instskip(SKIP_3) | instid1(VALU_DEP_1)
	v_add_f64 v[146:147], v[148:149], v[146:147]
	v_mul_f64 v[148:149], v[173:174], s[58:59]
	scratch_store_b64 off, v[148:149], off offset:184 ; 8-byte Folded Spill
	v_fma_f64 v[148:149], v[171:172], s[2:3], -v[148:149]
	v_add_f64 v[144:145], v[148:149], v[144:145]
	v_mul_f64 v[148:149], v[177:178], s[2:3]
	scratch_store_b64 off, v[148:149], off offset:232 ; 8-byte Folded Spill
	v_fma_f64 v[148:149], v[183:184], s[58:59], v[148:149]
	;; [unrolled: 9-line block ×6, first 2 shown]
	s_waitcnt_vscnt null, 0x0
	s_barrier
	buffer_gl0_inv
	v_add_f64 v[146:147], v[148:149], v[146:147]
	v_fma_f64 v[148:149], v[189:190], s[36:37], v[152:153]
	v_fma_f64 v[152:153], v[189:190], s[36:37], -v[152:153]
	s_delay_alu instid0(VALU_DEP_2) | instskip(NEXT) | instid1(VALU_DEP_2)
	v_add_f64 v[148:149], v[100:101], v[148:149]
	v_add_f64 v[152:153], v[100:101], v[152:153]
	s_delay_alu instid0(VALU_DEP_2) | instskip(SKIP_1) | instid1(VALU_DEP_3)
	v_add_f64 v[148:149], v[150:151], v[148:149]
	v_fma_f64 v[150:151], v[231:232], s[56:57], v[201:202]
	v_add_f64 v[152:153], v[154:155], v[152:153]
	v_fma_f64 v[154:155], v[231:232], s[40:41], v[201:202]
	v_fma_f64 v[201:202], v[167:168], s[22:23], v[213:214]
	s_delay_alu instid0(VALU_DEP_4) | instskip(NEXT) | instid1(VALU_DEP_3)
	v_add_f64 v[150:151], v[102:103], v[150:151]
	v_add_f64 v[154:155], v[102:103], v[154:155]
	s_delay_alu instid0(VALU_DEP_2) | instskip(SKIP_1) | instid1(VALU_DEP_3)
	v_add_f64 v[150:151], v[221:222], v[150:151]
	v_mul_f64 v[221:222], v[165:166], s[24:25]
	v_add_f64 v[154:155], v[201:202], v[154:155]
	s_delay_alu instid0(VALU_DEP_2) | instskip(SKIP_1) | instid1(VALU_DEP_2)
	v_fma_f64 v[223:224], v[163:164], s[20:21], v[221:222]
	v_fma_f64 v[201:202], v[163:164], s[20:21], -v[221:222]
	v_add_f64 v[148:149], v[223:224], v[148:149]
	v_mul_f64 v[223:224], v[169:170], s[20:21]
	s_delay_alu instid0(VALU_DEP_3) | instskip(NEXT) | instid1(VALU_DEP_2)
	v_add_f64 v[152:153], v[201:202], v[152:153]
	v_fma_f64 v[225:226], v[175:176], s[54:55], v[223:224]
	v_fma_f64 v[201:202], v[175:176], s[24:25], v[223:224]
	s_delay_alu instid0(VALU_DEP_2) | instskip(SKIP_1) | instid1(VALU_DEP_3)
	v_add_f64 v[150:151], v[225:226], v[150:151]
	v_mul_f64 v[225:226], v[173:174], s[48:49]
	v_add_f64 v[154:155], v[201:202], v[154:155]
	s_delay_alu instid0(VALU_DEP_2) | instskip(SKIP_1) | instid1(VALU_DEP_2)
	v_fma_f64 v[227:228], v[171:172], s[34:35], v[225:226]
	v_fma_f64 v[201:202], v[171:172], s[34:35], -v[225:226]
	v_add_f64 v[148:149], v[227:228], v[148:149]
	v_mul_f64 v[227:228], v[177:178], s[34:35]
	s_delay_alu instid0(VALU_DEP_3) | instskip(NEXT) | instid1(VALU_DEP_2)
	v_add_f64 v[152:153], v[201:202], v[152:153]
	v_fma_f64 v[233:234], v[183:184], s[38:39], v[227:228]
	v_fma_f64 v[201:202], v[183:184], s[48:49], v[227:228]
	s_delay_alu instid0(VALU_DEP_2) | instskip(SKIP_1) | instid1(VALU_DEP_3)
	v_add_f64 v[150:151], v[233:234], v[150:151]
	v_mul_f64 v[233:234], v[181:182], s[10:11]
	v_add_f64 v[154:155], v[201:202], v[154:155]
	s_delay_alu instid0(VALU_DEP_2) | instskip(SKIP_1) | instid1(VALU_DEP_2)
	v_fma_f64 v[235:236], v[179:180], s[2:3], v[233:234]
	v_fma_f64 v[201:202], v[179:180], s[2:3], -v[233:234]
	v_add_f64 v[148:149], v[235:236], v[148:149]
	v_mul_f64 v[235:236], v[185:186], s[2:3]
	s_delay_alu instid0(VALU_DEP_3) | instskip(NEXT) | instid1(VALU_DEP_2)
	v_add_f64 v[152:153], v[201:202], v[152:153]
	v_fma_f64 v[237:238], v[193:194], s[58:59], v[235:236]
	v_fma_f64 v[201:202], v[193:194], s[10:11], v[235:236]
	s_delay_alu instid0(VALU_DEP_2) | instskip(SKIP_1) | instid1(VALU_DEP_3)
	v_add_f64 v[150:151], v[237:238], v[150:151]
	v_mul_f64 v[237:238], v[191:192], s[44:45]
	v_add_f64 v[154:155], v[201:202], v[154:155]
	s_delay_alu instid0(VALU_DEP_2) | instskip(SKIP_1) | instid1(VALU_DEP_2)
	v_fma_f64 v[239:240], v[187:188], s[42:43], v[237:238]
	v_fma_f64 v[201:202], v[187:188], s[42:43], -v[237:238]
	v_add_f64 v[148:149], v[239:240], v[148:149]
	v_mul_f64 v[239:240], v[197:198], s[42:43]
	s_delay_alu instid0(VALU_DEP_3) | instskip(NEXT) | instid1(VALU_DEP_2)
	v_add_f64 v[152:153], v[201:202], v[152:153]
	v_fma_f64 v[241:242], v[209:210], s[50:51], v[239:240]
	v_fma_f64 v[201:202], v[209:210], s[44:45], v[239:240]
	s_delay_alu instid0(VALU_DEP_2) | instskip(SKIP_1) | instid1(VALU_DEP_3)
	v_add_f64 v[150:151], v[241:242], v[150:151]
	v_mul_f64 v[241:242], v[207:208], s[46:47]
	v_add_f64 v[154:155], v[201:202], v[154:155]
	s_delay_alu instid0(VALU_DEP_2) | instskip(SKIP_1) | instid1(VALU_DEP_2)
	v_fma_f64 v[243:244], v[199:200], s[14:15], v[241:242]
	v_fma_f64 v[201:202], v[199:200], s[14:15], -v[241:242]
	v_add_f64 v[148:149], v[243:244], v[148:149]
	v_mul_f64 v[243:244], v[203:204], s[14:15]
	s_delay_alu instid0(VALU_DEP_3) | instskip(NEXT) | instid1(VALU_DEP_2)
	v_add_f64 v[152:153], v[201:202], v[152:153]
	v_fma_f64 v[245:246], v[217:218], s[16:17], v[243:244]
	v_fma_f64 v[201:202], v[217:218], s[46:47], v[243:244]
	s_delay_alu instid0(VALU_DEP_2) | instskip(SKIP_1) | instid1(VALU_DEP_3)
	v_add_f64 v[150:151], v[245:246], v[150:151]
	v_mul_f64 v[245:246], v[215:216], s[52:53]
	v_add_f64 v[154:155], v[201:202], v[154:155]
	s_delay_alu instid0(VALU_DEP_2) | instskip(SKIP_1) | instid1(VALU_DEP_2)
	v_fma_f64 v[247:248], v[205:206], s[26:27], v[245:246]
	v_fma_f64 v[201:202], v[205:206], s[26:27], -v[245:246]
	v_add_f64 v[148:149], v[247:248], v[148:149]
	v_mul_f64 v[247:248], v[211:212], s[26:27]
	s_delay_alu instid0(VALU_DEP_3) | instskip(NEXT) | instid1(VALU_DEP_2)
	v_add_f64 v[152:153], v[201:202], v[152:153]
	v_fma_f64 v[249:250], v[219:220], s[30:31], v[247:248]
	v_fma_f64 v[213:214], v[219:220], s[52:53], v[247:248]
	s_delay_alu instid0(VALU_DEP_2) | instskip(NEXT) | instid1(VALU_DEP_2)
	v_add_f64 v[150:151], v[249:250], v[150:151]
	v_add_f64 v[154:155], v[213:214], v[154:155]
	s_and_saveexec_b32 s1, vcc_lo
	s_cbranch_execz .LBB0_17
; %bb.16:
	v_add_f64 v[106:107], v[102:103], v[106:107]
	v_add_f64 v[104:105], v[100:101], v[104:105]
	v_mul_f64 v[223:224], v[219:220], s[10:11]
	v_mul_f64 v[225:226], v[215:216], s[10:11]
	s_delay_alu instid0(VALU_DEP_4) | instskip(NEXT) | instid1(VALU_DEP_4)
	v_add_f64 v[106:107], v[110:111], v[106:107]
	v_add_f64 v[104:105], v[108:109], v[104:105]
	v_mul_f64 v[108:109], v[195:196], s[46:47]
	v_mul_f64 v[110:111], v[195:196], s[30:31]
	s_delay_alu instid0(VALU_DEP_4) | instskip(NEXT) | instid1(VALU_DEP_4)
	v_add_f64 v[106:107], v[118:119], v[106:107]
	v_add_f64 v[104:105], v[116:117], v[104:105]
	v_mul_f64 v[116:117], v[195:196], s[28:29]
	v_fma_f64 v[118:119], v[189:190], s[14:15], -v[108:109]
	v_fma_f64 v[108:109], v[189:190], s[14:15], v[108:109]
	v_add_f64 v[106:107], v[122:123], v[106:107]
	v_add_f64 v[104:105], v[120:121], v[104:105]
	v_fma_f64 v[120:121], v[189:190], s[26:27], -v[110:111]
	v_fma_f64 v[110:111], v[189:190], s[26:27], v[110:111]
	v_add_f64 v[118:119], v[100:101], v[118:119]
	v_add_f64 v[108:109], v[100:101], v[108:109]
	;; [unrolled: 1-line block ×4, first 2 shown]
	v_mul_f64 v[112:113], v[195:196], s[50:51]
	v_mul_f64 v[114:115], v[195:196], s[38:39]
	v_add_f64 v[120:121], v[100:101], v[120:121]
	v_add_f64 v[110:111], v[100:101], v[110:111]
	;; [unrolled: 1-line block ×4, first 2 shown]
	v_fma_f64 v[122:123], v[189:190], s[42:43], -v[112:113]
	v_fma_f64 v[112:113], v[189:190], s[42:43], v[112:113]
	s_delay_alu instid0(VALU_DEP_4) | instskip(NEXT) | instid1(VALU_DEP_4)
	v_add_f64 v[106:107], v[134:135], v[106:107]
	v_add_f64 v[104:105], v[132:133], v[104:105]
	s_delay_alu instid0(VALU_DEP_4) | instskip(NEXT) | instid1(VALU_DEP_4)
	v_add_f64 v[122:123], v[100:101], v[122:123]
	v_add_f64 v[112:113], v[100:101], v[112:113]
	;; [unrolled: 3-line block ×3, first 2 shown]
	s_delay_alu instid0(VALU_DEP_2) | instskip(NEXT) | instid1(VALU_DEP_2)
	v_add_f64 v[106:107], v[126:127], v[106:107]
	v_add_f64 v[104:105], v[124:125], v[104:105]
	v_fma_f64 v[124:125], v[189:190], s[34:35], -v[114:115]
	v_fma_f64 v[114:115], v[189:190], s[34:35], v[114:115]
	v_fma_f64 v[126:127], v[189:190], s[18:19], -v[116:117]
	v_fma_f64 v[116:117], v[189:190], s[18:19], v[116:117]
	v_add_f64 v[98:99], v[98:99], v[106:107]
	v_add_f64 v[96:97], v[96:97], v[104:105]
	;; [unrolled: 1-line block ×8, first 2 shown]
	s_delay_alu instid0(VALU_DEP_2) | instskip(NEXT) | instid1(VALU_DEP_2)
	v_add_f64 v[18:19], v[18:19], v[94:95]
	v_add_f64 v[16:17], v[16:17], v[92:93]
	v_mul_f64 v[92:93], v[231:232], s[28:29]
	s_delay_alu instid0(VALU_DEP_3) | instskip(NEXT) | instid1(VALU_DEP_3)
	v_add_f64 v[14:15], v[14:15], v[18:19]
	v_add_f64 v[12:13], v[12:13], v[16:17]
	v_mul_f64 v[16:17], v[231:232], s[50:51]
	v_mul_f64 v[18:19], v[231:232], s[38:39]
	v_fma_f64 v[106:107], v[229:230], s[18:19], v[92:93]
	v_fma_f64 v[92:93], v[229:230], s[18:19], -v[92:93]
	v_add_f64 v[10:11], v[10:11], v[14:15]
	v_add_f64 v[8:9], v[8:9], v[12:13]
	v_fma_f64 v[98:99], v[229:230], s[42:43], v[16:17]
	v_fma_f64 v[104:105], v[229:230], s[34:35], v[18:19]
	v_mul_f64 v[14:15], v[231:232], s[30:31]
	v_fma_f64 v[16:17], v[229:230], s[42:43], -v[16:17]
	v_fma_f64 v[18:19], v[229:230], s[34:35], -v[18:19]
	v_add_f64 v[195:196], v[102:103], v[92:93]
	scratch_load_b64 v[92:93], off, off offset:240 ; 8-byte Folded Reload
	v_add_f64 v[6:7], v[6:7], v[10:11]
	v_add_f64 v[4:5], v[4:5], v[8:9]
	s_clause 0x1
	scratch_load_b64 v[8:9], off, off offset:272
	scratch_load_b64 v[10:11], off, off offset:80
	v_add_f64 v[132:133], v[102:103], v[98:99]
	v_add_f64 v[136:137], v[102:103], v[104:105]
	s_clause 0x2
	scratch_load_b64 v[104:105], off, off offset:160
	scratch_load_b64 v[12:13], off, off offset:32
	;; [unrolled: 1-line block ×3, first 2 shown]
	v_fma_f64 v[96:97], v[229:230], s[26:27], v[14:15]
	v_fma_f64 v[14:15], v[229:230], s[26:27], -v[14:15]
	v_add_f64 v[134:135], v[102:103], v[16:17]
	v_add_f64 v[138:139], v[102:103], v[18:19]
	s_clause 0x1
	scratch_load_b64 v[16:17], off, off offset:256
	scratch_load_b64 v[18:19], off, off offset:248
	v_add_f64 v[2:3], v[2:3], v[6:7]
	scratch_load_b64 v[6:7], off, off offset:280 ; 8-byte Folded Reload
	v_add_f64 v[0:1], v[0:1], v[4:5]
	v_mul_f64 v[4:5], v[231:232], s[24:25]
	v_add_f64 v[96:97], v[102:103], v[96:97]
	v_add_f64 v[130:131], v[102:103], v[14:15]
	scratch_load_b64 v[14:15], off, off offset:264 ; 8-byte Folded Reload
	s_waitcnt vmcnt(1)
	v_add_f64 v[4:5], v[6:7], -v[4:5]
	v_mul_f64 v[6:7], v[189:190], s[20:21]
	s_delay_alu instid0(VALU_DEP_2) | instskip(NEXT) | instid1(VALU_DEP_2)
	v_add_f64 v[4:5], v[102:103], v[4:5]
	v_add_f64 v[6:7], v[6:7], v[8:9]
	v_mul_f64 v[8:9], v[231:232], s[10:11]
	s_delay_alu instid0(VALU_DEP_2) | instskip(NEXT) | instid1(VALU_DEP_2)
	v_add_f64 v[6:7], v[100:101], v[6:7]
	v_add_f64 v[8:9], v[10:11], -v[8:9]
	v_mul_f64 v[10:11], v[189:190], s[2:3]
	v_add_f64 v[189:190], v[102:103], v[106:107]
	scratch_load_b64 v[106:107], off, off offset:168 ; 8-byte Folded Reload
	v_add_f64 v[8:9], v[102:103], v[8:9]
	v_add_f64 v[10:11], v[10:11], v[12:13]
	v_mul_f64 v[12:13], v[231:232], s[46:47]
	s_delay_alu instid0(VALU_DEP_2) | instskip(NEXT) | instid1(VALU_DEP_2)
	v_add_f64 v[10:11], v[100:101], v[10:11]
	v_fma_f64 v[94:95], v[229:230], s[14:15], v[12:13]
	v_fma_f64 v[12:13], v[229:230], s[14:15], -v[12:13]
	scratch_load_b64 v[100:101], off, off offset:208 ; 8-byte Folded Reload
	v_add_f64 v[94:95], v[102:103], v[94:95]
	v_add_f64 v[128:129], v[102:103], v[12:13]
	scratch_load_b64 v[102:103], off, off offset:176 ; 8-byte Folded Reload
	v_mul_f64 v[12:13], v[219:220], s[46:47]
	s_waitcnt vmcnt(3)
	s_delay_alu instid0(VALU_DEP_1) | instskip(SKIP_1) | instid1(VALU_DEP_1)
	v_add_f64 v[12:13], v[14:15], -v[12:13]
	v_mul_f64 v[14:15], v[217:218], s[48:49]
	v_add_f64 v[14:15], v[16:17], -v[14:15]
	v_mul_f64 v[16:17], v[209:210], s[40:41]
	s_delay_alu instid0(VALU_DEP_1) | instskip(SKIP_1) | instid1(VALU_DEP_1)
	v_add_f64 v[16:17], v[18:19], -v[16:17]
	v_mul_f64 v[18:19], v[193:194], s[28:29]
	v_add_f64 v[18:19], v[92:93], -v[18:19]
	v_mul_f64 v[92:93], v[183:184], s[58:59]
	s_delay_alu instid0(VALU_DEP_1) | instskip(SKIP_2) | instid1(VALU_DEP_1)
	v_add_f64 v[92:93], v[98:99], -v[92:93]
	v_mul_f64 v[98:99], v[175:176], s[30:31]
	s_waitcnt vmcnt(1)
	v_add_f64 v[98:99], v[100:101], -v[98:99]
	v_mul_f64 v[100:101], v[167:168], s[44:45]
	s_waitcnt vmcnt(0)
	s_delay_alu instid0(VALU_DEP_1) | instskip(SKIP_1) | instid1(VALU_DEP_2)
	v_add_f64 v[100:101], v[102:103], -v[100:101]
	v_mul_f64 v[102:103], v[156:157], s[42:43]
	v_add_f64 v[4:5], v[100:101], v[4:5]
	s_delay_alu instid0(VALU_DEP_2) | instskip(SKIP_2) | instid1(VALU_DEP_4)
	v_add_f64 v[102:103], v[102:103], v[104:105]
	v_mul_f64 v[104:105], v[163:164], s[26:27]
	v_mul_f64 v[100:101], v[171:172], s[2:3]
	v_add_f64 v[4:5], v[98:99], v[4:5]
	s_delay_alu instid0(VALU_DEP_4)
	v_add_f64 v[6:7], v[102:103], v[6:7]
	scratch_load_b64 v[102:103], off, off offset:184 ; 8-byte Folded Reload
	v_add_f64 v[104:105], v[104:105], v[106:107]
	v_mul_f64 v[98:99], v[179:180], s[18:19]
	scratch_load_b64 v[106:107], off, off offset:56 ; 8-byte Folded Reload
	v_add_f64 v[4:5], v[92:93], v[4:5]
	v_mul_f64 v[92:93], v[187:188], s[36:37]
	v_add_f64 v[6:7], v[104:105], v[6:7]
	scratch_load_b64 v[104:105], off, off offset:40 ; 8-byte Folded Reload
	v_add_f64 v[4:5], v[18:19], v[4:5]
	v_mul_f64 v[18:19], v[199:200], s[34:35]
	s_delay_alu instid0(VALU_DEP_2) | instskip(SKIP_1) | instid1(VALU_DEP_2)
	v_add_f64 v[4:5], v[16:17], v[4:5]
	v_mul_f64 v[16:17], v[205:206], s[14:15]
	v_add_f64 v[4:5], v[14:15], v[4:5]
	s_waitcnt vmcnt(2)
	v_add_f64 v[100:101], v[100:101], v[102:103]
	scratch_load_b64 v[102:103], off, off offset:192 ; 8-byte Folded Reload
	v_add_f64 v[6:7], v[100:101], v[6:7]
	scratch_load_b64 v[100:101], off, off offset:200 ; 8-byte Folded Reload
	s_waitcnt vmcnt(1)
	v_add_f64 v[98:99], v[98:99], v[102:103]
	scratch_load_b64 v[102:103], off, off offset:48 ; 8-byte Folded Reload
	s_waitcnt vmcnt(1)
	v_add_f64 v[92:93], v[92:93], v[100:101]
	v_add_f64 v[6:7], v[98:99], v[6:7]
	s_clause 0x1
	scratch_load_b64 v[98:99], off, off offset:216
	scratch_load_b64 v[100:101], off, off offset:72
	v_add_f64 v[6:7], v[92:93], v[6:7]
	scratch_load_b64 v[92:93], off, off offset:224 ; 8-byte Folded Reload
	s_waitcnt vmcnt(2)
	v_add_f64 v[18:19], v[18:19], v[98:99]
	scratch_load_b64 v[98:99], off, off offset:96 ; 8-byte Folded Reload
	s_waitcnt vmcnt(1)
	v_add_f64 v[16:17], v[16:17], v[92:93]
	v_add_f64 v[14:15], v[18:19], v[6:7]
	;; [unrolled: 1-line block ×3, first 2 shown]
	s_clause 0x1
	scratch_load_b64 v[18:19], off, off offset:128
	scratch_load_b64 v[92:93], off, off offset:112
	v_mul_f64 v[12:13], v[219:220], s[44:45]
	v_add_f64 v[4:5], v[16:17], v[14:15]
	s_clause 0x1
	scratch_load_b64 v[14:15], off, off offset:152
	scratch_load_b64 v[16:17], off, off offset:144
	s_waitcnt vmcnt(1)
	v_add_f64 v[12:13], v[14:15], -v[12:13]
	v_mul_f64 v[14:15], v[217:218], s[40:41]
	s_waitcnt vmcnt(0)
	s_delay_alu instid0(VALU_DEP_1) | instskip(SKIP_1) | instid1(VALU_DEP_1)
	v_add_f64 v[14:15], v[16:17], -v[14:15]
	v_mul_f64 v[16:17], v[209:210], s[38:39]
	v_add_f64 v[16:17], v[18:19], -v[16:17]
	v_mul_f64 v[18:19], v[193:194], s[52:53]
	s_delay_alu instid0(VALU_DEP_1) | instskip(SKIP_1) | instid1(VALU_DEP_1)
	v_add_f64 v[18:19], v[92:93], -v[18:19]
	v_mul_f64 v[92:93], v[183:184], s[24:25]
	v_add_f64 v[92:93], v[98:99], -v[92:93]
	v_mul_f64 v[98:99], v[175:176], s[28:29]
	;; [unrolled: 5-line block ×3, first 2 shown]
	s_delay_alu instid0(VALU_DEP_2) | instskip(NEXT) | instid1(VALU_DEP_2)
	v_add_f64 v[8:9], v[100:101], v[8:9]
	v_add_f64 v[102:103], v[102:103], v[104:105]
	v_mul_f64 v[104:105], v[163:164], s[18:19]
	v_mul_f64 v[100:101], v[171:172], s[20:21]
	s_delay_alu instid0(VALU_DEP_4) | instskip(NEXT) | instid1(VALU_DEP_4)
	v_add_f64 v[8:9], v[98:99], v[8:9]
	v_add_f64 v[10:11], v[102:103], v[10:11]
	scratch_load_b64 v[102:103], off, off offset:64 ; 8-byte Folded Reload
	v_add_f64 v[104:105], v[104:105], v[106:107]
	v_mul_f64 v[98:99], v[179:180], s[26:27]
	v_add_f64 v[8:9], v[92:93], v[8:9]
	v_mul_f64 v[92:93], v[187:188], s[34:35]
	s_delay_alu instid0(VALU_DEP_4) | instskip(NEXT) | instid1(VALU_DEP_3)
	v_add_f64 v[10:11], v[104:105], v[10:11]
	v_add_f64 v[8:9], v[18:19], v[8:9]
	v_mul_f64 v[18:19], v[199:200], s[36:37]
	s_delay_alu instid0(VALU_DEP_2) | instskip(SKIP_1) | instid1(VALU_DEP_2)
	v_add_f64 v[8:9], v[16:17], v[8:9]
	v_mul_f64 v[16:17], v[205:206], s[42:43]
	v_add_f64 v[8:9], v[14:15], v[8:9]
	s_waitcnt vmcnt(0)
	v_add_f64 v[100:101], v[100:101], v[102:103]
	scratch_load_b64 v[102:103], off, off offset:88 ; 8-byte Folded Reload
	v_add_f64 v[10:11], v[100:101], v[10:11]
	scratch_load_b64 v[100:101], off, off offset:104 ; 8-byte Folded Reload
	s_waitcnt vmcnt(1)
	v_add_f64 v[98:99], v[98:99], v[102:103]
	s_waitcnt vmcnt(0)
	v_add_f64 v[92:93], v[92:93], v[100:101]
	s_delay_alu instid0(VALU_DEP_2)
	v_add_f64 v[10:11], v[98:99], v[10:11]
	scratch_load_b64 v[98:99], off, off offset:120 ; 8-byte Folded Reload
	v_add_f64 v[10:11], v[92:93], v[10:11]
	scratch_load_b64 v[92:93], off, off offset:136 ; 8-byte Folded Reload
	s_waitcnt vmcnt(1)
	v_add_f64 v[18:19], v[18:19], v[98:99]
	s_waitcnt vmcnt(0)
	v_add_f64 v[16:17], v[16:17], v[92:93]
	s_delay_alu instid0(VALU_DEP_2) | instskip(SKIP_3) | instid1(VALU_DEP_4)
	v_add_f64 v[14:15], v[18:19], v[10:11]
	v_add_f64 v[10:11], v[12:13], v[8:9]
	v_mul_f64 v[92:93], v[175:176], s[48:49]
	v_mul_f64 v[18:19], v[158:159], s[54:55]
	v_add_f64 v[8:9], v[16:17], v[14:15]
	v_mul_f64 v[16:17], v[167:168], s[54:55]
	s_delay_alu instid0(VALU_DEP_3) | instskip(SKIP_1) | instid1(VALU_DEP_3)
	v_fma_f64 v[14:15], v[156:157], s[20:21], -v[18:19]
	v_fma_f64 v[18:19], v[156:157], s[20:21], v[18:19]
	v_fma_f64 v[12:13], v[161:162], s[20:21], v[16:17]
	v_fma_f64 v[16:17], v[161:162], s[20:21], -v[16:17]
	s_delay_alu instid0(VALU_DEP_4) | instskip(NEXT) | instid1(VALU_DEP_4)
	v_add_f64 v[14:15], v[14:15], v[118:119]
	v_add_f64 v[18:19], v[18:19], v[108:109]
	s_delay_alu instid0(VALU_DEP_4) | instskip(SKIP_3) | instid1(VALU_DEP_3)
	v_add_f64 v[12:13], v[12:13], v[94:95]
	v_fma_f64 v[94:95], v[169:170], s[34:35], v[92:93]
	v_add_f64 v[16:17], v[16:17], v[128:129]
	v_fma_f64 v[92:93], v[169:170], s[34:35], -v[92:93]
	v_add_f64 v[12:13], v[94:95], v[12:13]
	v_mul_f64 v[94:95], v[165:166], s[48:49]
	s_delay_alu instid0(VALU_DEP_3) | instskip(NEXT) | instid1(VALU_DEP_2)
	v_add_f64 v[16:17], v[92:93], v[16:17]
	v_fma_f64 v[98:99], v[163:164], s[34:35], -v[94:95]
	v_fma_f64 v[92:93], v[163:164], s[34:35], v[94:95]
	v_fma_f64 v[94:95], v[205:206], s[2:3], v[225:226]
	s_delay_alu instid0(VALU_DEP_3) | instskip(SKIP_1) | instid1(VALU_DEP_4)
	v_add_f64 v[14:15], v[98:99], v[14:15]
	v_mul_f64 v[98:99], v[183:184], s[50:51]
	v_add_f64 v[18:19], v[92:93], v[18:19]
	s_delay_alu instid0(VALU_DEP_2) | instskip(SKIP_2) | instid1(VALU_DEP_3)
	v_fma_f64 v[100:101], v[177:178], s[42:43], v[98:99]
	v_fma_f64 v[92:93], v[177:178], s[42:43], -v[98:99]
	v_mul_f64 v[98:99], v[167:168], s[40:41]
	v_add_f64 v[12:13], v[100:101], v[12:13]
	v_mul_f64 v[100:101], v[173:174], s[50:51]
	s_delay_alu instid0(VALU_DEP_4) | instskip(NEXT) | instid1(VALU_DEP_2)
	v_add_f64 v[16:17], v[92:93], v[16:17]
	v_fma_f64 v[102:103], v[171:172], s[42:43], -v[100:101]
	v_fma_f64 v[92:93], v[171:172], s[42:43], v[100:101]
	v_mul_f64 v[100:101], v[175:176], s[16:17]
	s_delay_alu instid0(VALU_DEP_3) | instskip(SKIP_1) | instid1(VALU_DEP_4)
	v_add_f64 v[14:15], v[102:103], v[14:15]
	v_mul_f64 v[102:103], v[193:194], s[40:41]
	v_add_f64 v[18:19], v[92:93], v[18:19]
	s_delay_alu instid0(VALU_DEP_2) | instskip(SKIP_3) | instid1(VALU_DEP_4)
	v_fma_f64 v[104:105], v[185:186], s[36:37], v[102:103]
	v_fma_f64 v[92:93], v[185:186], s[36:37], -v[102:103]
	v_fma_f64 v[102:103], v[169:170], s[14:15], v[100:101]
	v_fma_f64 v[100:101], v[169:170], s[14:15], -v[100:101]
	v_add_f64 v[12:13], v[104:105], v[12:13]
	v_mul_f64 v[104:105], v[181:182], s[40:41]
	v_add_f64 v[16:17], v[92:93], v[16:17]
	s_delay_alu instid0(VALU_DEP_2) | instskip(SKIP_1) | instid1(VALU_DEP_2)
	v_fma_f64 v[106:107], v[179:180], s[36:37], -v[104:105]
	v_fma_f64 v[92:93], v[179:180], s[36:37], v[104:105]
	v_add_f64 v[14:15], v[106:107], v[14:15]
	v_mul_f64 v[106:107], v[209:210], s[52:53]
	s_delay_alu instid0(VALU_DEP_3) | instskip(NEXT) | instid1(VALU_DEP_2)
	v_add_f64 v[18:19], v[92:93], v[18:19]
	v_fma_f64 v[118:119], v[197:198], s[26:27], v[106:107]
	v_fma_f64 v[92:93], v[197:198], s[26:27], -v[106:107]
	s_delay_alu instid0(VALU_DEP_2) | instskip(SKIP_1) | instid1(VALU_DEP_3)
	v_add_f64 v[12:13], v[118:119], v[12:13]
	v_mul_f64 v[118:119], v[191:192], s[52:53]
	v_add_f64 v[16:17], v[92:93], v[16:17]
	s_delay_alu instid0(VALU_DEP_2) | instskip(SKIP_1) | instid1(VALU_DEP_2)
	v_fma_f64 v[201:202], v[187:188], s[26:27], -v[118:119]
	v_fma_f64 v[92:93], v[187:188], s[26:27], v[118:119]
	v_add_f64 v[14:15], v[201:202], v[14:15]
	v_mul_f64 v[201:202], v[217:218], s[28:29]
	s_delay_alu instid0(VALU_DEP_3) | instskip(NEXT) | instid1(VALU_DEP_2)
	v_add_f64 v[18:19], v[92:93], v[18:19]
	v_fma_f64 v[213:214], v[203:204], s[18:19], v[201:202]
	v_fma_f64 v[92:93], v[203:204], s[18:19], -v[201:202]
	s_delay_alu instid0(VALU_DEP_2) | instskip(SKIP_1) | instid1(VALU_DEP_3)
	v_add_f64 v[12:13], v[213:214], v[12:13]
	v_mul_f64 v[213:214], v[207:208], s[28:29]
	v_add_f64 v[16:17], v[92:93], v[16:17]
	s_delay_alu instid0(VALU_DEP_2) | instskip(SKIP_1) | instid1(VALU_DEP_2)
	v_fma_f64 v[92:93], v[199:200], s[18:19], v[213:214]
	v_fma_f64 v[221:222], v[199:200], s[18:19], -v[213:214]
	v_add_f64 v[92:93], v[92:93], v[18:19]
	v_fma_f64 v[18:19], v[211:212], s[2:3], -v[223:224]
	s_delay_alu instid0(VALU_DEP_3) | instskip(SKIP_2) | instid1(VALU_DEP_4)
	v_add_f64 v[221:222], v[221:222], v[14:15]
	v_fma_f64 v[14:15], v[211:212], s[2:3], v[223:224]
	v_mul_f64 v[223:224], v[219:220], s[48:49]
	v_add_f64 v[18:19], v[18:19], v[16:17]
	v_add_f64 v[16:17], v[94:95], v[92:93]
	v_fma_f64 v[92:93], v[161:162], s[36:37], v[98:99]
	v_fma_f64 v[98:99], v[161:162], s[36:37], -v[98:99]
	v_add_f64 v[14:15], v[14:15], v[12:13]
	v_fma_f64 v[12:13], v[205:206], s[2:3], -v[225:226]
	v_mul_f64 v[225:226], v[215:216], s[48:49]
	v_add_f64 v[92:93], v[92:93], v[96:97]
	v_mul_f64 v[96:97], v[158:159], s[40:41]
	v_add_f64 v[98:99], v[98:99], v[130:131]
	v_add_f64 v[12:13], v[12:13], v[221:222]
	s_delay_alu instid0(VALU_DEP_4) | instskip(NEXT) | instid1(VALU_DEP_4)
	v_add_f64 v[92:93], v[102:103], v[92:93]
	v_fma_f64 v[94:95], v[156:157], s[36:37], -v[96:97]
	v_mul_f64 v[102:103], v[165:166], s[16:17]
	v_fma_f64 v[96:97], v[156:157], s[36:37], v[96:97]
	v_add_f64 v[98:99], v[100:101], v[98:99]
	s_delay_alu instid0(VALU_DEP_4) | instskip(NEXT) | instid1(VALU_DEP_4)
	v_add_f64 v[94:95], v[94:95], v[120:121]
	v_fma_f64 v[104:105], v[163:164], s[14:15], -v[102:103]
	s_delay_alu instid0(VALU_DEP_4) | instskip(SKIP_2) | instid1(VALU_DEP_4)
	v_add_f64 v[96:97], v[96:97], v[110:111]
	v_fma_f64 v[100:101], v[163:164], s[14:15], v[102:103]
	v_fma_f64 v[102:103], v[205:206], s[34:35], v[225:226]
	v_add_f64 v[94:95], v[104:105], v[94:95]
	v_mul_f64 v[104:105], v[183:184], s[22:23]
	s_delay_alu instid0(VALU_DEP_4) | instskip(NEXT) | instid1(VALU_DEP_2)
	v_add_f64 v[96:97], v[100:101], v[96:97]
	v_fma_f64 v[106:107], v[177:178], s[18:19], v[104:105]
	v_fma_f64 v[100:101], v[177:178], s[18:19], -v[104:105]
	v_mul_f64 v[104:105], v[167:168], s[10:11]
	s_delay_alu instid0(VALU_DEP_3) | instskip(SKIP_1) | instid1(VALU_DEP_4)
	v_add_f64 v[92:93], v[106:107], v[92:93]
	v_mul_f64 v[106:107], v[173:174], s[22:23]
	v_add_f64 v[98:99], v[100:101], v[98:99]
	s_delay_alu instid0(VALU_DEP_2) | instskip(SKIP_2) | instid1(VALU_DEP_3)
	v_fma_f64 v[108:109], v[171:172], s[18:19], -v[106:107]
	v_fma_f64 v[100:101], v[171:172], s[18:19], v[106:107]
	v_mul_f64 v[106:107], v[158:159], s[10:11]
	v_add_f64 v[94:95], v[108:109], v[94:95]
	v_mul_f64 v[108:109], v[193:194], s[50:51]
	s_delay_alu instid0(VALU_DEP_4) | instskip(NEXT) | instid1(VALU_DEP_2)
	v_add_f64 v[96:97], v[100:101], v[96:97]
	v_fma_f64 v[118:119], v[185:186], s[42:43], v[108:109]
	v_fma_f64 v[100:101], v[185:186], s[42:43], -v[108:109]
	v_mul_f64 v[108:109], v[175:176], s[56:57]
	s_delay_alu instid0(VALU_DEP_3) | instskip(SKIP_1) | instid1(VALU_DEP_4)
	v_add_f64 v[92:93], v[118:119], v[92:93]
	v_mul_f64 v[118:119], v[181:182], s[50:51]
	v_add_f64 v[98:99], v[100:101], v[98:99]
	s_delay_alu instid0(VALU_DEP_4) | instskip(SKIP_1) | instid1(VALU_DEP_4)
	v_fma_f64 v[110:111], v[169:170], s[36:37], v[108:109]
	v_fma_f64 v[108:109], v[169:170], s[36:37], -v[108:109]
	v_fma_f64 v[120:121], v[179:180], s[42:43], -v[118:119]
	v_fma_f64 v[100:101], v[179:180], s[42:43], v[118:119]
	s_delay_alu instid0(VALU_DEP_2) | instskip(SKIP_1) | instid1(VALU_DEP_3)
	v_add_f64 v[94:95], v[120:121], v[94:95]
	v_mul_f64 v[120:121], v[209:210], s[24:25]
	v_add_f64 v[96:97], v[100:101], v[96:97]
	s_delay_alu instid0(VALU_DEP_2) | instskip(SKIP_1) | instid1(VALU_DEP_2)
	v_fma_f64 v[128:129], v[197:198], s[20:21], v[120:121]
	v_fma_f64 v[100:101], v[197:198], s[20:21], -v[120:121]
	v_add_f64 v[92:93], v[128:129], v[92:93]
	v_mul_f64 v[128:129], v[191:192], s[24:25]
	s_delay_alu instid0(VALU_DEP_3) | instskip(NEXT) | instid1(VALU_DEP_2)
	v_add_f64 v[98:99], v[100:101], v[98:99]
	v_fma_f64 v[201:202], v[187:188], s[20:21], -v[128:129]
	v_fma_f64 v[100:101], v[187:188], s[20:21], v[128:129]
	s_delay_alu instid0(VALU_DEP_2) | instskip(SKIP_1) | instid1(VALU_DEP_3)
	v_add_f64 v[94:95], v[201:202], v[94:95]
	v_mul_f64 v[201:202], v[217:218], s[58:59]
	v_add_f64 v[96:97], v[100:101], v[96:97]
	s_delay_alu instid0(VALU_DEP_2) | instskip(SKIP_1) | instid1(VALU_DEP_2)
	v_fma_f64 v[213:214], v[203:204], s[2:3], v[201:202]
	v_fma_f64 v[100:101], v[203:204], s[2:3], -v[201:202]
	v_add_f64 v[92:93], v[213:214], v[92:93]
	v_mul_f64 v[213:214], v[207:208], s[58:59]
	s_delay_alu instid0(VALU_DEP_3) | instskip(NEXT) | instid1(VALU_DEP_2)
	v_add_f64 v[98:99], v[100:101], v[98:99]
	v_fma_f64 v[100:101], v[199:200], s[2:3], v[213:214]
	v_fma_f64 v[221:222], v[199:200], s[2:3], -v[213:214]
	s_delay_alu instid0(VALU_DEP_2) | instskip(SKIP_1) | instid1(VALU_DEP_3)
	v_add_f64 v[96:97], v[100:101], v[96:97]
	v_fma_f64 v[100:101], v[211:212], s[34:35], -v[223:224]
	v_add_f64 v[221:222], v[221:222], v[94:95]
	v_fma_f64 v[94:95], v[211:212], s[34:35], v[223:224]
	v_mul_f64 v[223:224], v[219:220], s[24:25]
	v_add_f64 v[96:97], v[102:103], v[96:97]
	v_add_f64 v[98:99], v[100:101], v[98:99]
	v_fma_f64 v[100:101], v[161:162], s[2:3], v[104:105]
	v_fma_f64 v[102:103], v[156:157], s[2:3], -v[106:107]
	v_fma_f64 v[104:105], v[161:162], s[2:3], -v[104:105]
	v_fma_f64 v[106:107], v[156:157], s[2:3], v[106:107]
	v_add_f64 v[94:95], v[94:95], v[92:93]
	v_fma_f64 v[92:93], v[205:206], s[34:35], -v[225:226]
	v_mul_f64 v[225:226], v[215:216], s[24:25]
	v_add_f64 v[100:101], v[100:101], v[132:133]
	v_add_f64 v[102:103], v[102:103], v[122:123]
	;; [unrolled: 1-line block ×4, first 2 shown]
	v_mul_f64 v[112:113], v[167:168], s[30:31]
	v_add_f64 v[92:93], v[92:93], v[221:222]
	v_add_f64 v[100:101], v[110:111], v[100:101]
	v_mul_f64 v[110:111], v[165:166], s[56:57]
	v_add_f64 v[104:105], v[108:109], v[104:105]
	s_delay_alu instid0(VALU_DEP_2) | instskip(SKIP_2) | instid1(VALU_DEP_3)
	v_fma_f64 v[118:119], v[163:164], s[36:37], -v[110:111]
	v_fma_f64 v[108:109], v[163:164], s[36:37], v[110:111]
	v_fma_f64 v[110:111], v[205:206], s[20:21], v[225:226]
	v_add_f64 v[102:103], v[118:119], v[102:103]
	v_mul_f64 v[118:119], v[183:184], s[16:17]
	s_delay_alu instid0(VALU_DEP_4) | instskip(NEXT) | instid1(VALU_DEP_2)
	v_add_f64 v[106:107], v[108:109], v[106:107]
	v_fma_f64 v[120:121], v[177:178], s[14:15], v[118:119]
	v_fma_f64 v[108:109], v[177:178], s[14:15], -v[118:119]
	v_mul_f64 v[118:119], v[158:159], s[30:31]
	s_delay_alu instid0(VALU_DEP_3) | instskip(SKIP_1) | instid1(VALU_DEP_4)
	v_add_f64 v[100:101], v[120:121], v[100:101]
	v_mul_f64 v[120:121], v[173:174], s[16:17]
	v_add_f64 v[104:105], v[108:109], v[104:105]
	s_delay_alu instid0(VALU_DEP_2) | instskip(SKIP_2) | instid1(VALU_DEP_3)
	v_fma_f64 v[122:123], v[171:172], s[14:15], -v[120:121]
	v_fma_f64 v[108:109], v[171:172], s[14:15], v[120:121]
	v_mul_f64 v[120:121], v[175:176], s[10:11]
	v_add_f64 v[102:103], v[122:123], v[102:103]
	v_mul_f64 v[122:123], v[193:194], s[48:49]
	s_delay_alu instid0(VALU_DEP_4) | instskip(NEXT) | instid1(VALU_DEP_2)
	v_add_f64 v[106:107], v[108:109], v[106:107]
	v_fma_f64 v[128:129], v[185:186], s[34:35], v[122:123]
	v_fma_f64 v[108:109], v[185:186], s[34:35], -v[122:123]
	v_fma_f64 v[122:123], v[169:170], s[2:3], v[120:121]
	s_delay_alu instid0(VALU_DEP_3) | instskip(SKIP_1) | instid1(VALU_DEP_4)
	v_add_f64 v[100:101], v[128:129], v[100:101]
	v_mul_f64 v[128:129], v[181:182], s[48:49]
	v_add_f64 v[104:105], v[108:109], v[104:105]
	s_delay_alu instid0(VALU_DEP_2) | instskip(SKIP_1) | instid1(VALU_DEP_2)
	v_fma_f64 v[130:131], v[179:180], s[34:35], -v[128:129]
	v_fma_f64 v[108:109], v[179:180], s[34:35], v[128:129]
	v_add_f64 v[102:103], v[130:131], v[102:103]
	v_mul_f64 v[130:131], v[209:210], s[28:29]
	s_delay_alu instid0(VALU_DEP_3) | instskip(NEXT) | instid1(VALU_DEP_2)
	v_add_f64 v[106:107], v[108:109], v[106:107]
	v_fma_f64 v[132:133], v[197:198], s[18:19], v[130:131]
	v_fma_f64 v[108:109], v[197:198], s[18:19], -v[130:131]
	s_delay_alu instid0(VALU_DEP_2) | instskip(SKIP_1) | instid1(VALU_DEP_3)
	v_add_f64 v[100:101], v[132:133], v[100:101]
	v_mul_f64 v[132:133], v[191:192], s[28:29]
	v_add_f64 v[104:105], v[108:109], v[104:105]
	s_delay_alu instid0(VALU_DEP_2) | instskip(SKIP_1) | instid1(VALU_DEP_2)
	v_fma_f64 v[201:202], v[187:188], s[18:19], -v[132:133]
	v_fma_f64 v[108:109], v[187:188], s[18:19], v[132:133]
	v_add_f64 v[102:103], v[201:202], v[102:103]
	v_mul_f64 v[201:202], v[217:218], s[30:31]
	s_delay_alu instid0(VALU_DEP_3) | instskip(NEXT) | instid1(VALU_DEP_2)
	v_add_f64 v[106:107], v[108:109], v[106:107]
	v_fma_f64 v[213:214], v[203:204], s[26:27], v[201:202]
	v_fma_f64 v[108:109], v[203:204], s[26:27], -v[201:202]
	s_delay_alu instid0(VALU_DEP_2) | instskip(SKIP_1) | instid1(VALU_DEP_3)
	v_add_f64 v[100:101], v[213:214], v[100:101]
	v_mul_f64 v[213:214], v[207:208], s[30:31]
	v_add_f64 v[104:105], v[108:109], v[104:105]
	s_delay_alu instid0(VALU_DEP_2) | instskip(SKIP_1) | instid1(VALU_DEP_2)
	v_fma_f64 v[108:109], v[199:200], s[26:27], v[213:214]
	v_fma_f64 v[221:222], v[199:200], s[26:27], -v[213:214]
	v_add_f64 v[108:109], v[108:109], v[106:107]
	v_fma_f64 v[106:107], v[211:212], s[20:21], -v[223:224]
	s_delay_alu instid0(VALU_DEP_3) | instskip(SKIP_2) | instid1(VALU_DEP_4)
	v_add_f64 v[221:222], v[221:222], v[102:103]
	v_fma_f64 v[102:103], v[211:212], s[20:21], v[223:224]
	v_mul_f64 v[223:224], v[219:220], s[22:23]
	v_add_f64 v[106:107], v[106:107], v[104:105]
	v_add_f64 v[104:105], v[110:111], v[108:109]
	v_fma_f64 v[108:109], v[161:162], s[26:27], v[112:113]
	v_fma_f64 v[110:111], v[156:157], s[26:27], -v[118:119]
	v_fma_f64 v[112:113], v[161:162], s[26:27], -v[112:113]
	v_fma_f64 v[118:119], v[156:157], s[26:27], v[118:119]
	v_add_f64 v[102:103], v[102:103], v[100:101]
	v_fma_f64 v[100:101], v[205:206], s[20:21], -v[225:226]
	v_mul_f64 v[225:226], v[215:216], s[22:23]
	v_add_f64 v[108:109], v[108:109], v[136:137]
	v_add_f64 v[110:111], v[110:111], v[124:125]
	;; [unrolled: 1-line block ×4, first 2 shown]
	v_fma_f64 v[118:119], v[169:170], s[2:3], -v[120:121]
	v_add_f64 v[100:101], v[100:101], v[221:222]
	v_fma_f64 v[120:121], v[205:206], s[18:19], v[225:226]
	v_add_f64 v[108:109], v[122:123], v[108:109]
	v_mul_f64 v[122:123], v[165:166], s[10:11]
	v_add_f64 v[112:113], v[118:119], v[112:113]
	s_delay_alu instid0(VALU_DEP_2) | instskip(SKIP_2) | instid1(VALU_DEP_3)
	v_fma_f64 v[124:125], v[163:164], s[2:3], -v[122:123]
	v_fma_f64 v[118:119], v[163:164], s[2:3], v[122:123]
	v_mul_f64 v[122:123], v[158:159], s[38:39]
	v_add_f64 v[110:111], v[124:125], v[110:111]
	v_mul_f64 v[124:125], v[183:184], s[40:41]
	s_delay_alu instid0(VALU_DEP_4) | instskip(NEXT) | instid1(VALU_DEP_2)
	v_add_f64 v[114:115], v[118:119], v[114:115]
	v_fma_f64 v[128:129], v[177:178], s[36:37], v[124:125]
	v_fma_f64 v[118:119], v[177:178], s[36:37], -v[124:125]
	v_fma_f64 v[124:125], v[156:157], s[34:35], v[122:123]
	v_fma_f64 v[122:123], v[156:157], s[34:35], -v[122:123]
	s_delay_alu instid0(VALU_DEP_4)
	v_add_f64 v[108:109], v[128:129], v[108:109]
	v_mul_f64 v[128:129], v[173:174], s[40:41]
	v_add_f64 v[112:113], v[118:119], v[112:113]
	v_add_f64 v[116:117], v[124:125], v[116:117]
	v_mul_f64 v[124:125], v[175:176], s[50:51]
	v_add_f64 v[122:123], v[122:123], v[126:127]
	v_mul_f64 v[175:176], v[215:216], s[40:41]
	v_fma_f64 v[130:131], v[171:172], s[36:37], -v[128:129]
	v_fma_f64 v[118:119], v[171:172], s[36:37], v[128:129]
	v_fma_f64 v[128:129], v[169:170], s[42:43], -v[124:125]
	v_fma_f64 v[124:125], v[169:170], s[42:43], v[124:125]
	s_delay_alu instid0(VALU_DEP_4) | instskip(SKIP_2) | instid1(VALU_DEP_2)
	v_add_f64 v[110:111], v[130:131], v[110:111]
	v_mul_f64 v[130:131], v[193:194], s[54:55]
	v_add_f64 v[114:115], v[118:119], v[114:115]
	v_fma_f64 v[132:133], v[185:186], s[20:21], v[130:131]
	v_fma_f64 v[118:119], v[185:186], s[20:21], -v[130:131]
	s_delay_alu instid0(VALU_DEP_2) | instskip(SKIP_1) | instid1(VALU_DEP_3)
	v_add_f64 v[108:109], v[132:133], v[108:109]
	v_mul_f64 v[132:133], v[181:182], s[54:55]
	v_add_f64 v[112:113], v[118:119], v[112:113]
	s_delay_alu instid0(VALU_DEP_2) | instskip(SKIP_1) | instid1(VALU_DEP_2)
	v_fma_f64 v[134:135], v[179:180], s[20:21], -v[132:133]
	v_fma_f64 v[118:119], v[179:180], s[20:21], v[132:133]
	v_add_f64 v[110:111], v[134:135], v[110:111]
	v_mul_f64 v[134:135], v[209:210], s[16:17]
	s_delay_alu instid0(VALU_DEP_3) | instskip(NEXT) | instid1(VALU_DEP_2)
	v_add_f64 v[114:115], v[118:119], v[114:115]
	v_fma_f64 v[136:137], v[197:198], s[14:15], v[134:135]
	v_fma_f64 v[118:119], v[197:198], s[14:15], -v[134:135]
	s_delay_alu instid0(VALU_DEP_2) | instskip(SKIP_1) | instid1(VALU_DEP_3)
	v_add_f64 v[108:109], v[136:137], v[108:109]
	v_mul_f64 v[136:137], v[191:192], s[16:17]
	v_add_f64 v[112:113], v[118:119], v[112:113]
	s_delay_alu instid0(VALU_DEP_2) | instskip(SKIP_1) | instid1(VALU_DEP_2)
	v_fma_f64 v[201:202], v[187:188], s[14:15], -v[136:137]
	v_fma_f64 v[118:119], v[187:188], s[14:15], v[136:137]
	v_add_f64 v[110:111], v[201:202], v[110:111]
	v_mul_f64 v[201:202], v[217:218], s[44:45]
	s_delay_alu instid0(VALU_DEP_3) | instskip(NEXT) | instid1(VALU_DEP_2)
	v_add_f64 v[114:115], v[118:119], v[114:115]
	v_fma_f64 v[213:214], v[203:204], s[42:43], v[201:202]
	v_fma_f64 v[118:119], v[203:204], s[42:43], -v[201:202]
	s_delay_alu instid0(VALU_DEP_2) | instskip(SKIP_1) | instid1(VALU_DEP_3)
	v_add_f64 v[108:109], v[213:214], v[108:109]
	v_mul_f64 v[213:214], v[207:208], s[44:45]
	v_add_f64 v[112:113], v[118:119], v[112:113]
	s_delay_alu instid0(VALU_DEP_2) | instskip(SKIP_1) | instid1(VALU_DEP_2)
	v_fma_f64 v[118:119], v[199:200], s[42:43], v[213:214]
	v_fma_f64 v[221:222], v[199:200], s[42:43], -v[213:214]
	v_add_f64 v[118:119], v[118:119], v[114:115]
	v_fma_f64 v[114:115], v[211:212], s[18:19], -v[223:224]
	s_delay_alu instid0(VALU_DEP_3) | instskip(SKIP_1) | instid1(VALU_DEP_3)
	v_add_f64 v[221:222], v[221:222], v[110:111]
	v_fma_f64 v[110:111], v[211:212], s[18:19], v[223:224]
	v_add_f64 v[114:115], v[114:115], v[112:113]
	v_add_f64 v[112:113], v[120:121], v[118:119]
	v_mul_f64 v[120:121], v[167:168], s[38:39]
	s_delay_alu instid0(VALU_DEP_4) | instskip(SKIP_1) | instid1(VALU_DEP_3)
	v_add_f64 v[110:111], v[110:111], v[108:109]
	v_fma_f64 v[108:109], v[205:206], s[18:19], -v[225:226]
	v_fma_f64 v[118:119], v[161:162], s[34:35], -v[120:121]
	v_fma_f64 v[120:121], v[161:162], s[34:35], v[120:121]
	s_delay_alu instid0(VALU_DEP_3) | instskip(NEXT) | instid1(VALU_DEP_3)
	v_add_f64 v[108:109], v[108:109], v[221:222]
	v_add_f64 v[118:119], v[118:119], v[195:196]
	s_delay_alu instid0(VALU_DEP_3) | instskip(NEXT) | instid1(VALU_DEP_2)
	v_add_f64 v[120:121], v[120:121], v[189:190]
	v_add_f64 v[118:119], v[128:129], v[118:119]
	v_mul_f64 v[128:129], v[165:166], s[50:51]
	s_delay_alu instid0(VALU_DEP_3) | instskip(NEXT) | instid1(VALU_DEP_2)
	v_add_f64 v[120:121], v[124:125], v[120:121]
	v_fma_f64 v[130:131], v[163:164], s[42:43], v[128:129]
	v_fma_f64 v[128:129], v[163:164], s[42:43], -v[128:129]
	s_delay_alu instid0(VALU_DEP_2) | instskip(SKIP_1) | instid1(VALU_DEP_3)
	v_add_f64 v[116:117], v[130:131], v[116:117]
	v_mul_f64 v[130:131], v[183:184], s[30:31]
	v_add_f64 v[122:123], v[128:129], v[122:123]
	s_delay_alu instid0(VALU_DEP_2) | instskip(SKIP_1) | instid1(VALU_DEP_2)
	v_fma_f64 v[132:133], v[177:178], s[26:27], -v[130:131]
	v_fma_f64 v[126:127], v[177:178], s[26:27], v[130:131]
	v_add_f64 v[118:119], v[132:133], v[118:119]
	v_mul_f64 v[132:133], v[173:174], s[30:31]
	s_delay_alu instid0(VALU_DEP_3) | instskip(NEXT) | instid1(VALU_DEP_2)
	v_add_f64 v[120:121], v[126:127], v[120:121]
	v_fma_f64 v[134:135], v[171:172], s[26:27], v[132:133]
	v_fma_f64 v[130:131], v[171:172], s[26:27], -v[132:133]
	s_delay_alu instid0(VALU_DEP_2) | instskip(SKIP_1) | instid1(VALU_DEP_3)
	v_add_f64 v[116:117], v[134:135], v[116:117]
	v_mul_f64 v[134:135], v[193:194], s[46:47]
	v_add_f64 v[122:123], v[130:131], v[122:123]
	s_delay_alu instid0(VALU_DEP_2) | instskip(SKIP_1) | instid1(VALU_DEP_2)
	v_fma_f64 v[136:137], v[185:186], s[14:15], -v[134:135]
	v_fma_f64 v[124:125], v[185:186], s[14:15], v[134:135]
	;; [unrolled: 13-line block ×3, first 2 shown]
	v_add_f64 v[118:119], v[158:159], v[118:119]
	v_mul_f64 v[158:159], v[191:192], s[10:11]
	s_delay_alu instid0(VALU_DEP_3) | instskip(NEXT) | instid1(VALU_DEP_2)
	v_add_f64 v[120:121], v[126:127], v[120:121]
	v_fma_f64 v[165:166], v[187:188], s[2:3], v[158:159]
	v_fma_f64 v[130:131], v[187:188], s[2:3], -v[158:159]
	s_delay_alu instid0(VALU_DEP_2) | instskip(SKIP_1) | instid1(VALU_DEP_3)
	v_add_f64 v[116:117], v[165:166], v[116:117]
	v_mul_f64 v[165:166], v[217:218], s[24:25]
	v_add_f64 v[122:123], v[130:131], v[122:123]
	v_fma_f64 v[130:131], v[205:206], s[36:37], -v[175:176]
	s_delay_alu instid0(VALU_DEP_3) | instskip(SKIP_1) | instid1(VALU_DEP_2)
	v_fma_f64 v[167:168], v[203:204], s[20:21], -v[165:166]
	v_fma_f64 v[124:125], v[203:204], s[20:21], v[165:166]
	v_add_f64 v[118:119], v[167:168], v[118:119]
	v_mul_f64 v[167:168], v[207:208], s[24:25]
	s_delay_alu instid0(VALU_DEP_3) | instskip(NEXT) | instid1(VALU_DEP_2)
	v_add_f64 v[120:121], v[124:125], v[120:121]
	v_fma_f64 v[173:174], v[199:200], s[20:21], v[167:168]
	v_fma_f64 v[128:129], v[199:200], s[20:21], -v[167:168]
	s_delay_alu instid0(VALU_DEP_2) | instskip(SKIP_1) | instid1(VALU_DEP_3)
	v_add_f64 v[116:117], v[173:174], v[116:117]
	v_mul_f64 v[173:174], v[219:220], s[40:41]
	v_add_f64 v[124:125], v[128:129], v[122:123]
	s_delay_alu instid0(VALU_DEP_2) | instskip(SKIP_1) | instid1(VALU_DEP_2)
	v_fma_f64 v[126:127], v[211:212], s[36:37], v[173:174]
	v_fma_f64 v[181:182], v[211:212], s[36:37], -v[173:174]
	v_add_f64 v[122:123], v[126:127], v[120:121]
	s_delay_alu instid0(VALU_DEP_4)
	v_add_f64 v[120:121], v[130:131], v[124:125]
	s_clause 0x1
	scratch_load_b32 v124, off, off offset:4
	scratch_load_b32 v125, off, off
	v_add_f64 v[118:119], v[181:182], v[118:119]
	v_fma_f64 v[181:182], v[205:206], s[36:37], v[175:176]
	s_delay_alu instid0(VALU_DEP_1) | instskip(SKIP_3) | instid1(VALU_DEP_1)
	v_add_f64 v[116:117], v[181:182], v[116:117]
	s_waitcnt vmcnt(1)
	v_and_b32_e32 v124, 0xffff, v124
	s_waitcnt vmcnt(0)
	v_lshl_add_u32 v124, v124, 4, v125
	ds_store_b128 v124, v[112:115] offset:32
	ds_store_b128 v124, v[104:107] offset:48
	;; [unrolled: 1-line block ×15, first 2 shown]
	ds_store_b128 v124, v[0:3]
	ds_store_b128 v124, v[120:123] offset:256
.LBB0_17:
	s_or_b32 exec_lo, exec_lo, s1
	s_waitcnt lgkmcnt(0)
	s_barrier
	buffer_gl0_inv
	ds_load_b128 v[0:3], v255
	ds_load_b128 v[4:7], v255 offset:1088
	ds_load_b128 v[92:95], v255 offset:2720
	;; [unrolled: 1-line block ×7, first 2 shown]
	s_and_saveexec_b32 s1, s0
	s_cbranch_execz .LBB0_19
; %bb.18:
	ds_load_b128 v[148:151], v255 offset:2176
	ds_load_b128 v[152:155], v255 offset:4896
	;; [unrolled: 1-line block ×4, first 2 shown]
.LBB0_19:
	s_or_b32 exec_lo, exec_lo, s1
	s_waitcnt lgkmcnt(5)
	v_mul_f64 v[104:105], v[70:71], v[94:95]
	v_mul_f64 v[70:71], v[70:71], v[92:93]
	s_waitcnt lgkmcnt(3)
	v_mul_f64 v[106:107], v[62:63], v[98:99]
	v_mul_f64 v[62:63], v[62:63], v[96:97]
	;; [unrolled: 3-line block ×3, first 2 shown]
	v_mul_f64 v[110:111], v[54:55], v[10:11]
	v_mul_f64 v[54:55], v[54:55], v[8:9]
	;; [unrolled: 1-line block ×4, first 2 shown]
	s_waitcnt lgkmcnt(0)
	v_mul_f64 v[114:115], v[38:39], v[18:19]
	v_mul_f64 v[38:39], v[38:39], v[16:17]
	s_barrier
	buffer_gl0_inv
	v_fma_f64 v[92:93], v[68:69], v[92:93], v[104:105]
	v_fma_f64 v[68:69], v[68:69], v[94:95], -v[70:71]
	v_fma_f64 v[70:71], v[60:61], v[96:97], v[106:107]
	v_fma_f64 v[60:61], v[60:61], v[98:99], -v[62:63]
	;; [unrolled: 2-line block ×6, first 2 shown]
	v_add_f64 v[36:37], v[0:1], -v[70:71]
	v_add_f64 v[38:39], v[2:3], -v[60:61]
	;; [unrolled: 1-line block ×8, first 2 shown]
	v_fma_f64 v[54:55], v[0:1], 2.0, -v[36:37]
	v_fma_f64 v[58:59], v[2:3], 2.0, -v[38:39]
	v_fma_f64 v[14:15], v[92:93], 2.0, -v[48:49]
	v_fma_f64 v[18:19], v[68:69], 2.0, -v[50:51]
	v_add_f64 v[0:1], v[36:37], v[50:51]
	v_add_f64 v[2:3], v[38:39], -v[48:49]
	v_fma_f64 v[60:61], v[4:5], 2.0, -v[52:53]
	v_fma_f64 v[62:63], v[6:7], 2.0, -v[56:57]
	;; [unrolled: 1-line block ×4, first 2 shown]
	v_add_f64 v[4:5], v[52:53], v[12:13]
	v_add_f64 v[8:9], v[54:55], -v[14:15]
	v_add_f64 v[10:11], v[58:59], -v[18:19]
	v_fma_f64 v[18:19], v[38:39], 2.0, -v[2:3]
	v_add_f64 v[12:13], v[60:61], -v[6:7]
	v_add_f64 v[14:15], v[62:63], -v[68:69]
	;; [unrolled: 1-line block ×3, first 2 shown]
	v_fma_f64 v[16:17], v[36:37], 2.0, -v[0:1]
	v_fma_f64 v[36:37], v[52:53], 2.0, -v[4:5]
	;; [unrolled: 1-line block ×7, first 2 shown]
	ds_store_b128 v253, v[8:11] offset:544
	ds_store_b128 v253, v[0:3] offset:816
	ds_store_b128 v253, v[48:51]
	ds_store_b128 v253, v[16:19] offset:272
	ds_store_b128 v252, v[52:55]
	ds_store_b128 v252, v[36:39] offset:272
	ds_store_b128 v252, v[12:15] offset:544
	ds_store_b128 v252, v[4:7] offset:816
	s_and_saveexec_b32 s1, s0
	s_cbranch_execz .LBB0_21
; %bb.20:
	v_mul_f64 v[0:1], v[26:27], v[144:145]
	v_mul_f64 v[2:3], v[30:31], v[154:155]
	;; [unrolled: 1-line block ×6, first 2 shown]
	v_fma_f64 v[0:1], v[24:25], v[146:147], -v[0:1]
	v_fma_f64 v[2:3], v[28:29], v[152:153], v[2:3]
	v_fma_f64 v[4:5], v[28:29], v[154:155], -v[4:5]
	v_fma_f64 v[6:7], v[20:21], v[142:143], -v[6:7]
	v_fma_f64 v[8:9], v[24:25], v[144:145], v[8:9]
	v_fma_f64 v[10:11], v[20:21], v[140:141], v[10:11]
	v_add_f64 v[12:13], v[150:151], -v[0:1]
	s_delay_alu instid0(VALU_DEP_4) | instskip(NEXT) | instid1(VALU_DEP_4)
	v_add_f64 v[0:1], v[4:5], -v[6:7]
	v_add_f64 v[8:9], v[148:149], -v[8:9]
	s_delay_alu instid0(VALU_DEP_4) | instskip(NEXT) | instid1(VALU_DEP_4)
	v_add_f64 v[6:7], v[2:3], -v[10:11]
	v_fma_f64 v[14:15], v[150:151], 2.0, -v[12:13]
	s_delay_alu instid0(VALU_DEP_4) | instskip(NEXT) | instid1(VALU_DEP_4)
	v_fma_f64 v[4:5], v[4:5], 2.0, -v[0:1]
	v_fma_f64 v[16:17], v[148:149], 2.0, -v[8:9]
	s_delay_alu instid0(VALU_DEP_4) | instskip(SKIP_3) | instid1(VALU_DEP_4)
	v_fma_f64 v[10:11], v[2:3], 2.0, -v[6:7]
	v_add_f64 v[2:3], v[12:13], -v[6:7]
	v_add_f64 v[0:1], v[8:9], v[0:1]
	v_add_f64 v[6:7], v[14:15], -v[4:5]
	v_add_f64 v[4:5], v[16:17], -v[10:11]
	s_delay_alu instid0(VALU_DEP_4) | instskip(NEXT) | instid1(VALU_DEP_4)
	v_fma_f64 v[10:11], v[12:13], 2.0, -v[2:3]
	v_fma_f64 v[8:9], v[8:9], 2.0, -v[0:1]
	s_delay_alu instid0(VALU_DEP_4) | instskip(NEXT) | instid1(VALU_DEP_4)
	v_fma_f64 v[14:15], v[14:15], 2.0, -v[6:7]
	v_fma_f64 v[12:13], v[16:17], 2.0, -v[4:5]
	s_clause 0x1
	scratch_load_b32 v16, off, off offset:16
	scratch_load_b32 v17, off, off offset:8
	s_waitcnt vmcnt(1)
	v_mul_u32_u24_e32 v16, 0x44, v16
	s_waitcnt vmcnt(0)
	s_delay_alu instid0(VALU_DEP_1)
	v_add_nc_u32_e32 v16, v16, v17
	scratch_load_b32 v17, off, off          ; 4-byte Folded Reload
	s_waitcnt vmcnt(0)
	v_lshl_add_u32 v16, v16, 4, v17
	ds_store_b128 v16, v[12:15]
	ds_store_b128 v16, v[8:11] offset:272
	ds_store_b128 v16, v[4:7] offset:544
	;; [unrolled: 1-line block ×3, first 2 shown]
.LBB0_21:
	s_or_b32 exec_lo, exec_lo, s1
	s_waitcnt lgkmcnt(0)
	s_barrier
	buffer_gl0_inv
	ds_load_b128 v[0:3], v255 offset:3264
	ds_load_b128 v[4:7], v255 offset:5440
	;; [unrolled: 1-line block ×6, first 2 shown]
	s_mov_b32 s10, 0x134454ff
	s_mov_b32 s11, 0xbfee6f0e
	;; [unrolled: 1-line block ×15, first 2 shown]
	s_waitcnt lgkmcnt(5)
	v_mul_f64 v[24:25], v[78:79], v[0:1]
	s_waitcnt lgkmcnt(4)
	v_mul_f64 v[26:27], v[86:87], v[4:5]
	;; [unrolled: 2-line block ×5, first 2 shown]
	v_mul_f64 v[50:51], v[78:79], v[2:3]
	v_mul_f64 v[52:53], v[86:87], v[6:7]
	;; [unrolled: 1-line block ×4, first 2 shown]
	s_waitcnt lgkmcnt(0)
	v_mul_f64 v[60:61], v[74:75], v[20:21]
	v_mul_f64 v[34:35], v[34:35], v[18:19]
	s_mov_b32 s22, s18
	v_fma_f64 v[58:59], v[76:77], v[2:3], -v[24:25]
	v_fma_f64 v[6:7], v[84:85], v[6:7], -v[26:27]
	;; [unrolled: 1-line block ×4, first 2 shown]
	ds_load_b128 v[24:27], v255 offset:4352
	ds_load_b128 v[28:31], v255 offset:6528
	;; [unrolled: 1-line block ×3, first 2 shown]
	v_fma_f64 v[50:51], v[76:77], v[0:1], v[50:51]
	v_fma_f64 v[4:5], v[84:85], v[4:5], v[52:53]
	;; [unrolled: 1-line block ×4, first 2 shown]
	v_fma_f64 v[18:19], v[32:33], v[18:19], -v[48:49]
	v_mul_f64 v[2:3], v[74:75], v[22:23]
	v_fma_f64 v[22:23], v[72:73], v[22:23], -v[60:61]
	v_fma_f64 v[16:17], v[32:33], v[16:17], v[34:35]
	s_waitcnt lgkmcnt(2)
	v_mul_f64 v[62:63], v[66:67], v[26:27]
	v_mul_f64 v[66:67], v[66:67], v[24:25]
	s_waitcnt lgkmcnt(1)
	v_mul_f64 v[68:69], v[46:47], v[30:31]
	s_waitcnt lgkmcnt(0)
	v_mul_f64 v[70:71], v[42:43], v[38:39]
	v_mul_f64 v[46:47], v[46:47], v[28:29]
	;; [unrolled: 1-line block ×3, first 2 shown]
	v_add_f64 v[0:1], v[6:7], v[10:11]
	v_add_f64 v[48:49], v[58:59], v[14:15]
	v_add_f64 v[60:61], v[58:59], -v[14:15]
	v_add_f64 v[84:85], v[50:51], -v[4:5]
	v_add_f64 v[32:33], v[4:5], v[8:9]
	v_add_f64 v[34:35], v[50:51], v[12:13]
	v_add_f64 v[86:87], v[12:13], -v[8:9]
	v_fma_f64 v[20:21], v[72:73], v[20:21], v[2:3]
	v_add_f64 v[88:89], v[8:9], -v[12:13]
	v_fma_f64 v[24:25], v[64:65], v[24:25], v[62:63]
	v_fma_f64 v[26:27], v[64:65], v[26:27], -v[66:67]
	v_fma_f64 v[28:29], v[44:45], v[28:29], v[68:69]
	v_fma_f64 v[36:37], v[40:41], v[36:37], v[70:71]
	v_fma_f64 v[30:31], v[44:45], v[30:31], -v[46:47]
	v_fma_f64 v[38:39], v[40:41], v[38:39], -v[42:43]
	v_add_f64 v[40:41], v[50:51], -v[12:13]
	v_add_f64 v[42:43], v[4:5], -v[8:9]
	;; [unrolled: 1-line block ×7, first 2 shown]
	v_fma_f64 v[44:45], v[0:1], -0.5, v[18:19]
	v_fma_f64 v[46:47], v[48:49], -0.5, v[18:19]
	ds_load_b128 v[0:3], v255
	v_add_f64 v[18:19], v[18:19], v[58:59]
	v_fma_f64 v[32:33], v[32:33], -0.5, v[16:17]
	v_fma_f64 v[34:35], v[34:35], -0.5, v[16:17]
	v_add_f64 v[16:17], v[16:17], v[50:51]
	v_add_f64 v[50:51], v[4:5], -v[50:51]
	v_add_f64 v[90:91], v[22:23], -v[26:27]
	v_add_f64 v[48:49], v[24:25], v[28:29]
	v_add_f64 v[52:53], v[20:21], v[36:37]
	;; [unrolled: 1-line block ×4, first 2 shown]
	s_waitcnt lgkmcnt(0)
	v_add_f64 v[76:77], v[0:1], v[20:21]
	v_add_f64 v[82:83], v[2:3], v[22:23]
	v_add_f64 v[78:79], v[22:23], -v[38:39]
	v_add_f64 v[58:59], v[20:21], -v[36:37]
	;; [unrolled: 1-line block ×6, first 2 shown]
	v_fma_f64 v[72:73], v[40:41], s[0:1], v[44:45]
	v_fma_f64 v[74:75], v[42:43], s[10:11], v[46:47]
	v_fma_f64 v[46:47], v[42:43], s[0:1], v[46:47]
	v_fma_f64 v[44:45], v[40:41], s[10:11], v[44:45]
	v_add_f64 v[6:7], v[18:19], v[6:7]
	v_add_f64 v[4:5], v[16:17], v[4:5]
	;; [unrolled: 1-line block ×4, first 2 shown]
	v_fma_f64 v[48:49], v[48:49], -0.5, v[0:1]
	v_fma_f64 v[0:1], v[52:53], -0.5, v[0:1]
	;; [unrolled: 1-line block ×4, first 2 shown]
	v_add_f64 v[56:57], v[62:63], v[64:65]
	v_add_f64 v[62:63], v[66:67], v[68:69]
	v_fma_f64 v[64:65], v[60:61], s[10:11], v[32:33]
	v_fma_f64 v[32:33], v[60:61], s[0:1], v[32:33]
	;; [unrolled: 1-line block ×4, first 2 shown]
	v_add_f64 v[52:53], v[24:25], -v[28:29]
	v_add_f64 v[26:27], v[82:83], v[26:27]
	v_add_f64 v[22:23], v[22:23], v[94:95]
	v_fma_f64 v[68:69], v[42:43], s[2:3], v[72:73]
	v_fma_f64 v[72:73], v[40:41], s[2:3], v[74:75]
	;; [unrolled: 1-line block ×4, first 2 shown]
	v_add_f64 v[44:45], v[20:21], -v[24:25]
	v_add_f64 v[20:21], v[24:25], -v[20:21]
	v_add_f64 v[24:25], v[76:77], v[24:25]
	v_add_f64 v[46:47], v[36:37], -v[28:29]
	v_add_f64 v[74:75], v[28:29], -v[36:37]
	v_add_f64 v[4:5], v[4:5], v[8:9]
	v_add_f64 v[6:7], v[6:7], v[10:11]
	v_fma_f64 v[18:19], v[78:79], s[10:11], v[48:49]
	v_fma_f64 v[48:49], v[78:79], s[0:1], v[48:49]
	;; [unrolled: 1-line block ×12, first 2 shown]
	v_add_f64 v[26:27], v[26:27], v[30:31]
	v_fma_f64 v[60:61], v[56:57], s[14:15], v[68:69]
	v_fma_f64 v[68:69], v[62:63], s[14:15], v[72:73]
	;; [unrolled: 1-line block ×4, first 2 shown]
	v_add_f64 v[24:25], v[24:25], v[28:29]
	v_add_f64 v[44:45], v[44:45], v[46:47]
	;; [unrolled: 1-line block ×6, first 2 shown]
	v_fma_f64 v[8:9], v[80:81], s[16:17], v[18:19]
	v_fma_f64 v[10:11], v[80:81], s[2:3], v[48:49]
	;; [unrolled: 1-line block ×12, first 2 shown]
	v_add_f64 v[26:27], v[26:27], v[38:39]
	v_mul_f64 v[50:51], v[60:61], s[16:17]
	v_mul_f64 v[60:61], v[60:61], s[18:19]
	;; [unrolled: 1-line block ×8, first 2 shown]
	v_add_f64 v[24:25], v[24:25], v[36:37]
	v_fma_f64 v[36:37], v[44:45], s[14:15], v[8:9]
	v_fma_f64 v[38:39], v[44:45], s[14:15], v[10:11]
	;; [unrolled: 1-line block ×8, first 2 shown]
	v_add_f64 v[2:3], v[26:27], v[6:7]
	v_add_f64 v[6:7], v[26:27], -v[6:7]
	v_fma_f64 v[28:29], v[52:53], s[18:19], v[50:51]
	v_fma_f64 v[52:53], v[52:53], s[2:3], v[60:61]
	;; [unrolled: 1-line block ×8, first 2 shown]
	v_add_f64 v[0:1], v[24:25], v[4:5]
	v_add_f64 v[4:5], v[24:25], -v[4:5]
	v_add_f64 v[8:9], v[36:37], v[28:29]
	v_add_f64 v[10:11], v[66:67], v[52:53]
	;; [unrolled: 1-line block ×8, first 2 shown]
	v_add_f64 v[24:25], v[36:37], -v[28:29]
	v_add_f64 v[26:27], v[66:67], -v[52:53]
	v_add_f64 v[28:29], v[44:45], -v[50:51]
	v_add_f64 v[30:31], v[30:31], -v[58:59]
	v_add_f64 v[32:33], v[64:65], -v[54:55]
	v_add_f64 v[34:35], v[48:49], -v[34:35]
	v_add_f64 v[36:37], v[38:39], -v[56:57]
	v_add_f64 v[38:39], v[46:47], -v[40:41]
	ds_store_b128 v251, v[0:3]
	ds_store_b128 v251, v[8:11] offset:1088
	ds_store_b128 v251, v[12:15] offset:2176
	;; [unrolled: 1-line block ×9, first 2 shown]
	s_waitcnt lgkmcnt(0)
	s_barrier
	buffer_gl0_inv
	s_and_b32 exec_lo, exec_lo, vcc_lo
	s_cbranch_execz .LBB0_23
; %bb.22:
	v_lshlrev_b32_e32 v18, 4, v254
	s_mov_b32 s0, 0x18181818
	s_mov_b32 s1, 0x3f581818
	s_mul_i32 s2, s5, 0x280
	s_mul_i32 s3, s4, 0x280
	global_load_b128 v[0:3], v18, s[8:9]
	ds_load_b128 v[4:7], v251
	ds_load_b128 v[8:11], v251 offset:640
	s_waitcnt vmcnt(0) lgkmcnt(1)
	v_mul_f64 v[12:13], v[6:7], v[2:3]
	v_mul_f64 v[2:3], v[4:5], v[2:3]
	s_delay_alu instid0(VALU_DEP_2) | instskip(NEXT) | instid1(VALU_DEP_2)
	v_fma_f64 v[4:5], v[4:5], v[0:1], v[12:13]
	v_fma_f64 v[0:1], v[0:1], v[6:7], -v[2:3]
	v_mad_u64_u32 v[6:7], null, s6, v160, 0
	v_mad_u64_u32 v[12:13], null, s4, v254, 0
	s_mul_hi_u32 s6, s4, 0x280
	s_delay_alu instid0(SALU_CYCLE_1) | instskip(NEXT) | instid1(VALU_DEP_4)
	s_add_i32 s2, s6, s2
	v_mul_f64 v[2:3], v[4:5], s[0:1]
	s_delay_alu instid0(VALU_DEP_4) | instskip(NEXT) | instid1(VALU_DEP_3)
	v_mul_f64 v[4:5], v[0:1], s[0:1]
	v_dual_mov_b32 v1, v13 :: v_dual_mov_b32 v0, v7
	v_add_co_u32 v20, s6, s8, v18
	s_delay_alu instid0(VALU_DEP_1) | instskip(NEXT) | instid1(VALU_DEP_3)
	v_add_co_ci_u32_e64 v21, null, s9, 0, s6
	v_mad_u64_u32 v[13:14], null, s7, v160, v[0:1]
	s_delay_alu instid0(VALU_DEP_1) | instskip(SKIP_1) | instid1(VALU_DEP_2)
	v_mov_b32_e32 v7, v13
	v_mad_u64_u32 v[14:15], null, s5, v254, v[1:2]
	v_lshlrev_b64 v[0:1], 4, v[6:7]
	s_delay_alu instid0(VALU_DEP_1) | instskip(NEXT) | instid1(VALU_DEP_3)
	v_add_co_u32 v0, vcc_lo, s12, v0
	v_mov_b32_e32 v13, v14
	s_delay_alu instid0(VALU_DEP_3) | instskip(NEXT) | instid1(VALU_DEP_2)
	v_add_co_ci_u32_e32 v1, vcc_lo, s13, v1, vcc_lo
	v_lshlrev_b64 v[6:7], 4, v[12:13]
	s_delay_alu instid0(VALU_DEP_1) | instskip(NEXT) | instid1(VALU_DEP_2)
	v_add_co_u32 v6, vcc_lo, v0, v6
	v_add_co_ci_u32_e32 v7, vcc_lo, v1, v7, vcc_lo
	s_delay_alu instid0(VALU_DEP_2)
	v_add_co_u32 v14, vcc_lo, v6, s3
	global_store_b128 v[6:7], v[2:5], off
	global_load_b128 v[2:5], v18, s[8:9] offset:640
	v_add_co_ci_u32_e32 v15, vcc_lo, s2, v7, vcc_lo
	s_waitcnt vmcnt(0) lgkmcnt(0)
	v_mul_f64 v[12:13], v[10:11], v[4:5]
	v_mul_f64 v[4:5], v[8:9], v[4:5]
	s_delay_alu instid0(VALU_DEP_2) | instskip(NEXT) | instid1(VALU_DEP_2)
	v_fma_f64 v[8:9], v[8:9], v[2:3], v[12:13]
	v_fma_f64 v[4:5], v[2:3], v[10:11], -v[4:5]
	s_delay_alu instid0(VALU_DEP_2) | instskip(NEXT) | instid1(VALU_DEP_2)
	v_mul_f64 v[2:3], v[8:9], s[0:1]
	v_mul_f64 v[4:5], v[4:5], s[0:1]
	global_store_b128 v[14:15], v[2:5], off
	global_load_b128 v[2:5], v18, s[8:9] offset:1280
	ds_load_b128 v[6:9], v251 offset:1280
	ds_load_b128 v[10:13], v251 offset:1920
	s_waitcnt vmcnt(0) lgkmcnt(1)
	v_mul_f64 v[16:17], v[8:9], v[4:5]
	v_mul_f64 v[4:5], v[6:7], v[4:5]
	s_delay_alu instid0(VALU_DEP_2) | instskip(NEXT) | instid1(VALU_DEP_2)
	v_fma_f64 v[6:7], v[6:7], v[2:3], v[16:17]
	v_fma_f64 v[4:5], v[2:3], v[8:9], -v[4:5]
	s_delay_alu instid0(VALU_DEP_2) | instskip(NEXT) | instid1(VALU_DEP_2)
	v_mul_f64 v[2:3], v[6:7], s[0:1]
	v_mul_f64 v[4:5], v[4:5], s[0:1]
	v_add_co_u32 v6, vcc_lo, v14, s3
	v_add_co_ci_u32_e32 v7, vcc_lo, s2, v15, vcc_lo
	s_delay_alu instid0(VALU_DEP_2) | instskip(NEXT) | instid1(VALU_DEP_2)
	v_add_co_u32 v14, vcc_lo, v6, s3
	v_add_co_ci_u32_e32 v15, vcc_lo, s2, v7, vcc_lo
	global_store_b128 v[6:7], v[2:5], off
	global_load_b128 v[2:5], v18, s[8:9] offset:1920
	s_waitcnt vmcnt(0) lgkmcnt(0)
	v_mul_f64 v[8:9], v[12:13], v[4:5]
	v_mul_f64 v[4:5], v[10:11], v[4:5]
	s_delay_alu instid0(VALU_DEP_2) | instskip(NEXT) | instid1(VALU_DEP_2)
	v_fma_f64 v[8:9], v[10:11], v[2:3], v[8:9]
	v_fma_f64 v[4:5], v[2:3], v[12:13], -v[4:5]
	s_delay_alu instid0(VALU_DEP_2) | instskip(NEXT) | instid1(VALU_DEP_2)
	v_mul_f64 v[2:3], v[8:9], s[0:1]
	v_mul_f64 v[4:5], v[4:5], s[0:1]
	global_store_b128 v[14:15], v[2:5], off
	global_load_b128 v[2:5], v18, s[8:9] offset:2560
	ds_load_b128 v[6:9], v251 offset:2560
	ds_load_b128 v[10:13], v251 offset:3200
	s_waitcnt vmcnt(0) lgkmcnt(1)
	v_mul_f64 v[16:17], v[8:9], v[4:5]
	v_mul_f64 v[4:5], v[6:7], v[4:5]
	s_delay_alu instid0(VALU_DEP_2) | instskip(NEXT) | instid1(VALU_DEP_2)
	v_fma_f64 v[6:7], v[6:7], v[2:3], v[16:17]
	v_fma_f64 v[4:5], v[2:3], v[8:9], -v[4:5]
	s_delay_alu instid0(VALU_DEP_2) | instskip(NEXT) | instid1(VALU_DEP_2)
	v_mul_f64 v[2:3], v[6:7], s[0:1]
	v_mul_f64 v[4:5], v[4:5], s[0:1]
	v_add_co_u32 v6, vcc_lo, v14, s3
	v_add_co_ci_u32_e32 v7, vcc_lo, s2, v15, vcc_lo
	s_delay_alu instid0(VALU_DEP_2) | instskip(NEXT) | instid1(VALU_DEP_2)
	v_add_co_u32 v14, vcc_lo, v6, s3
	v_add_co_ci_u32_e32 v15, vcc_lo, s2, v7, vcc_lo
	global_store_b128 v[6:7], v[2:5], off
	global_load_b128 v[2:5], v18, s[8:9] offset:3200
	s_waitcnt vmcnt(0) lgkmcnt(0)
	v_mul_f64 v[8:9], v[12:13], v[4:5]
	v_mul_f64 v[4:5], v[10:11], v[4:5]
	s_delay_alu instid0(VALU_DEP_2) | instskip(NEXT) | instid1(VALU_DEP_2)
	v_fma_f64 v[8:9], v[10:11], v[2:3], v[8:9]
	v_fma_f64 v[4:5], v[2:3], v[12:13], -v[4:5]
	s_delay_alu instid0(VALU_DEP_2) | instskip(NEXT) | instid1(VALU_DEP_2)
	v_mul_f64 v[2:3], v[8:9], s[0:1]
	v_mul_f64 v[4:5], v[4:5], s[0:1]
	global_store_b128 v[14:15], v[2:5], off
	global_load_b128 v[2:5], v18, s[8:9] offset:3840
	ds_load_b128 v[6:9], v251 offset:3840
	ds_load_b128 v[10:13], v251 offset:4480
	scratch_load_b32 v22, off, off offset:28 ; 4-byte Folded Reload
	s_waitcnt vmcnt(1) lgkmcnt(1)
	v_mul_f64 v[16:17], v[8:9], v[4:5]
	v_mul_f64 v[4:5], v[6:7], v[4:5]
	s_delay_alu instid0(VALU_DEP_2) | instskip(NEXT) | instid1(VALU_DEP_2)
	v_fma_f64 v[6:7], v[6:7], v[2:3], v[16:17]
	v_fma_f64 v[4:5], v[2:3], v[8:9], -v[4:5]
	s_delay_alu instid0(VALU_DEP_2) | instskip(NEXT) | instid1(VALU_DEP_2)
	v_mul_f64 v[2:3], v[6:7], s[0:1]
	v_mul_f64 v[4:5], v[4:5], s[0:1]
	v_add_co_u32 v6, vcc_lo, v14, s3
	v_add_co_ci_u32_e32 v7, vcc_lo, s2, v15, vcc_lo
	v_add_co_u32 v14, vcc_lo, 0x1000, v20
	v_add_co_ci_u32_e32 v15, vcc_lo, 0, v21, vcc_lo
	s_delay_alu instid0(VALU_DEP_4) | instskip(NEXT) | instid1(VALU_DEP_4)
	v_add_co_u32 v16, vcc_lo, v6, s3
	v_add_co_ci_u32_e32 v17, vcc_lo, s2, v7, vcc_lo
	global_store_b128 v[6:7], v[2:5], off
	s_waitcnt vmcnt(0)
	v_lshlrev_b32_e32 v6, 4, v22
	global_load_b128 v[2:5], v[14:15], off offset:384
	s_waitcnt vmcnt(0) lgkmcnt(0)
	v_mul_f64 v[8:9], v[12:13], v[4:5]
	v_mul_f64 v[4:5], v[10:11], v[4:5]
	s_delay_alu instid0(VALU_DEP_2) | instskip(NEXT) | instid1(VALU_DEP_2)
	v_fma_f64 v[8:9], v[10:11], v[2:3], v[8:9]
	v_fma_f64 v[4:5], v[2:3], v[12:13], -v[4:5]
	s_delay_alu instid0(VALU_DEP_2) | instskip(NEXT) | instid1(VALU_DEP_2)
	v_mul_f64 v[2:3], v[8:9], s[0:1]
	v_mul_f64 v[4:5], v[4:5], s[0:1]
	global_store_b128 v[16:17], v[2:5], off
	global_load_b128 v[2:5], v6, s[8:9]
	ds_load_b128 v[6:9], v251 offset:5120
	ds_load_b128 v[10:13], v251 offset:5760
	s_waitcnt vmcnt(0) lgkmcnt(1)
	v_mul_f64 v[18:19], v[8:9], v[4:5]
	v_mul_f64 v[4:5], v[6:7], v[4:5]
	s_delay_alu instid0(VALU_DEP_2) | instskip(NEXT) | instid1(VALU_DEP_2)
	v_fma_f64 v[6:7], v[6:7], v[2:3], v[18:19]
	v_fma_f64 v[4:5], v[2:3], v[8:9], -v[4:5]
	v_mad_u64_u32 v[8:9], null, s4, v22, 0
	s_delay_alu instid0(VALU_DEP_3) | instskip(NEXT) | instid1(VALU_DEP_3)
	v_mul_f64 v[2:3], v[6:7], s[0:1]
	v_mul_f64 v[4:5], v[4:5], s[0:1]
	s_delay_alu instid0(VALU_DEP_3) | instskip(NEXT) | instid1(VALU_DEP_1)
	v_mov_b32_e32 v6, v9
	v_mad_u64_u32 v[18:19], null, s5, v22, v[6:7]
	s_delay_alu instid0(VALU_DEP_1) | instskip(SKIP_1) | instid1(VALU_DEP_2)
	v_mov_b32_e32 v9, v18
	v_mad_u64_u32 v[18:19], null, 0x500, s4, v[16:17]
	v_lshlrev_b64 v[6:7], 4, v[8:9]
	s_delay_alu instid0(VALU_DEP_1) | instskip(NEXT) | instid1(VALU_DEP_2)
	v_add_co_u32 v6, vcc_lo, v0, v6
	v_add_co_ci_u32_e32 v7, vcc_lo, v1, v7, vcc_lo
	global_store_b128 v[6:7], v[2:5], off
	global_load_b128 v[2:5], v[14:15], off offset:1664
	s_waitcnt vmcnt(0) lgkmcnt(0)
	v_mul_f64 v[6:7], v[12:13], v[4:5]
	v_mul_f64 v[4:5], v[10:11], v[4:5]
	s_delay_alu instid0(VALU_DEP_2) | instskip(NEXT) | instid1(VALU_DEP_2)
	v_fma_f64 v[6:7], v[10:11], v[2:3], v[6:7]
	v_fma_f64 v[4:5], v[2:3], v[12:13], -v[4:5]
	s_delay_alu instid0(VALU_DEP_2) | instskip(NEXT) | instid1(VALU_DEP_2)
	v_mul_f64 v[2:3], v[6:7], s[0:1]
	v_mul_f64 v[4:5], v[4:5], s[0:1]
	v_mov_b32_e32 v6, v19
	s_delay_alu instid0(VALU_DEP_1) | instskip(NEXT) | instid1(VALU_DEP_1)
	v_mad_u64_u32 v[7:8], null, 0x500, s5, v[6:7]
	v_mov_b32_e32 v19, v7
	global_store_b128 v[18:19], v[2:5], off
	global_load_b128 v[2:5], v[14:15], off offset:2304
	ds_load_b128 v[6:9], v251 offset:6400
	ds_load_b128 v[10:13], v251 offset:7040
	s_waitcnt vmcnt(0) lgkmcnt(1)
	v_mul_f64 v[16:17], v[8:9], v[4:5]
	v_mul_f64 v[4:5], v[6:7], v[4:5]
	s_delay_alu instid0(VALU_DEP_2) | instskip(NEXT) | instid1(VALU_DEP_2)
	v_fma_f64 v[6:7], v[6:7], v[2:3], v[16:17]
	v_fma_f64 v[4:5], v[2:3], v[8:9], -v[4:5]
	s_delay_alu instid0(VALU_DEP_2) | instskip(NEXT) | instid1(VALU_DEP_2)
	v_mul_f64 v[2:3], v[6:7], s[0:1]
	v_mul_f64 v[4:5], v[4:5], s[0:1]
	v_add_co_u32 v6, vcc_lo, v18, s3
	v_add_co_ci_u32_e32 v7, vcc_lo, s2, v19, vcc_lo
	s_delay_alu instid0(VALU_DEP_2) | instskip(NEXT) | instid1(VALU_DEP_2)
	v_add_co_u32 v16, vcc_lo, v6, s3
	v_add_co_ci_u32_e32 v17, vcc_lo, s2, v7, vcc_lo
	global_store_b128 v[6:7], v[2:5], off
	global_load_b128 v[2:5], v[14:15], off offset:2944
	s_waitcnt vmcnt(0) lgkmcnt(0)
	v_mul_f64 v[8:9], v[12:13], v[4:5]
	v_mul_f64 v[4:5], v[10:11], v[4:5]
	s_delay_alu instid0(VALU_DEP_2) | instskip(NEXT) | instid1(VALU_DEP_2)
	v_fma_f64 v[8:9], v[10:11], v[2:3], v[8:9]
	v_fma_f64 v[4:5], v[2:3], v[12:13], -v[4:5]
	s_delay_alu instid0(VALU_DEP_2) | instskip(NEXT) | instid1(VALU_DEP_2)
	v_mul_f64 v[2:3], v[8:9], s[0:1]
	v_mul_f64 v[4:5], v[4:5], s[0:1]
	global_store_b128 v[16:17], v[2:5], off
	global_load_b128 v[2:5], v[14:15], off offset:3584
	ds_load_b128 v[6:9], v251 offset:7680
	ds_load_b128 v[10:13], v251 offset:8320
	s_waitcnt vmcnt(0) lgkmcnt(1)
	v_mul_f64 v[14:15], v[8:9], v[4:5]
	v_mul_f64 v[4:5], v[6:7], v[4:5]
	s_delay_alu instid0(VALU_DEP_2) | instskip(NEXT) | instid1(VALU_DEP_2)
	v_fma_f64 v[6:7], v[6:7], v[2:3], v[14:15]
	v_fma_f64 v[4:5], v[2:3], v[8:9], -v[4:5]
	s_delay_alu instid0(VALU_DEP_2) | instskip(NEXT) | instid1(VALU_DEP_2)
	v_mul_f64 v[2:3], v[6:7], s[0:1]
	v_mul_f64 v[4:5], v[4:5], s[0:1]
	v_add_co_u32 v6, vcc_lo, v16, s3
	v_add_co_ci_u32_e32 v7, vcc_lo, s2, v17, vcc_lo
	v_add_co_u32 v14, vcc_lo, 0x2000, v20
	v_add_co_ci_u32_e32 v15, vcc_lo, 0, v21, vcc_lo
	s_delay_alu instid0(VALU_DEP_4) | instskip(NEXT) | instid1(VALU_DEP_4)
	v_add_co_u32 v16, vcc_lo, v6, s3
	v_add_co_ci_u32_e32 v17, vcc_lo, s2, v7, vcc_lo
	global_store_b128 v[6:7], v[2:5], off
	global_load_b128 v[2:5], v[14:15], off offset:128
	s_waitcnt vmcnt(0) lgkmcnt(0)
	v_mul_f64 v[8:9], v[12:13], v[4:5]
	v_mul_f64 v[4:5], v[10:11], v[4:5]
	s_delay_alu instid0(VALU_DEP_2) | instskip(NEXT) | instid1(VALU_DEP_2)
	v_fma_f64 v[8:9], v[10:11], v[2:3], v[8:9]
	v_fma_f64 v[4:5], v[2:3], v[12:13], -v[4:5]
	s_delay_alu instid0(VALU_DEP_2) | instskip(NEXT) | instid1(VALU_DEP_2)
	v_mul_f64 v[2:3], v[8:9], s[0:1]
	v_mul_f64 v[4:5], v[4:5], s[0:1]
	global_store_b128 v[16:17], v[2:5], off
	global_load_b128 v[2:5], v[14:15], off offset:768
	ds_load_b128 v[6:9], v251 offset:8960
	ds_load_b128 v[10:13], v251 offset:9600
	s_waitcnt vmcnt(0) lgkmcnt(1)
	v_mul_f64 v[18:19], v[8:9], v[4:5]
	v_mul_f64 v[4:5], v[6:7], v[4:5]
	s_delay_alu instid0(VALU_DEP_2) | instskip(NEXT) | instid1(VALU_DEP_2)
	v_fma_f64 v[6:7], v[6:7], v[2:3], v[18:19]
	v_fma_f64 v[4:5], v[2:3], v[8:9], -v[4:5]
	s_delay_alu instid0(VALU_DEP_2) | instskip(NEXT) | instid1(VALU_DEP_2)
	v_mul_f64 v[2:3], v[6:7], s[0:1]
	v_mul_f64 v[4:5], v[4:5], s[0:1]
	v_add_co_u32 v6, vcc_lo, v16, s3
	v_add_co_ci_u32_e32 v7, vcc_lo, s2, v17, vcc_lo
	global_store_b128 v[6:7], v[2:5], off
	global_load_b128 v[2:5], v[14:15], off offset:1408
	v_add_co_u32 v6, vcc_lo, v6, s3
	v_add_co_ci_u32_e32 v7, vcc_lo, s2, v7, vcc_lo
	s_waitcnt vmcnt(0) lgkmcnt(0)
	v_mul_f64 v[8:9], v[12:13], v[4:5]
	v_mul_f64 v[4:5], v[10:11], v[4:5]
	s_delay_alu instid0(VALU_DEP_2) | instskip(NEXT) | instid1(VALU_DEP_2)
	v_fma_f64 v[8:9], v[10:11], v[2:3], v[8:9]
	v_fma_f64 v[4:5], v[2:3], v[12:13], -v[4:5]
	scratch_load_b32 v12, off, off offset:24 ; 4-byte Folded Reload
	v_mul_f64 v[2:3], v[8:9], s[0:1]
	v_mul_f64 v[4:5], v[4:5], s[0:1]
	global_store_b128 v[6:7], v[2:5], off
	s_waitcnt vmcnt(0)
	v_lshlrev_b32_e32 v8, 4, v12
	global_load_b128 v[2:5], v8, s[8:9]
	ds_load_b128 v[6:9], v251 offset:10240
	s_waitcnt vmcnt(0) lgkmcnt(0)
	v_mul_f64 v[10:11], v[8:9], v[4:5]
	v_mul_f64 v[4:5], v[6:7], v[4:5]
	s_delay_alu instid0(VALU_DEP_2) | instskip(NEXT) | instid1(VALU_DEP_2)
	v_fma_f64 v[6:7], v[6:7], v[2:3], v[10:11]
	v_fma_f64 v[4:5], v[2:3], v[8:9], -v[4:5]
	v_mad_u64_u32 v[8:9], null, s4, v12, 0
	s_delay_alu instid0(VALU_DEP_3) | instskip(NEXT) | instid1(VALU_DEP_3)
	v_mul_f64 v[2:3], v[6:7], s[0:1]
	v_mul_f64 v[4:5], v[4:5], s[0:1]
	s_delay_alu instid0(VALU_DEP_3) | instskip(NEXT) | instid1(VALU_DEP_1)
	v_mov_b32_e32 v6, v9
	v_mad_u64_u32 v[9:10], null, s5, v12, v[6:7]
	s_delay_alu instid0(VALU_DEP_1) | instskip(NEXT) | instid1(VALU_DEP_1)
	v_lshlrev_b64 v[6:7], 4, v[8:9]
	v_add_co_u32 v0, vcc_lo, v0, v6
	s_delay_alu instid0(VALU_DEP_2)
	v_add_co_ci_u32_e32 v1, vcc_lo, v1, v7, vcc_lo
	global_store_b128 v[0:1], v[2:5], off
.LBB0_23:
	s_nop 0
	s_sendmsg sendmsg(MSG_DEALLOC_VGPRS)
	s_endpgm
	.section	.rodata,"a",@progbits
	.p2align	6, 0x0
	.amdhsa_kernel bluestein_single_fwd_len680_dim1_dp_op_CI_CI
		.amdhsa_group_segment_fixed_size 32640
		.amdhsa_private_segment_fixed_size 476
		.amdhsa_kernarg_size 104
		.amdhsa_user_sgpr_count 15
		.amdhsa_user_sgpr_dispatch_ptr 0
		.amdhsa_user_sgpr_queue_ptr 0
		.amdhsa_user_sgpr_kernarg_segment_ptr 1
		.amdhsa_user_sgpr_dispatch_id 0
		.amdhsa_user_sgpr_private_segment_size 0
		.amdhsa_wavefront_size32 1
		.amdhsa_uses_dynamic_stack 0
		.amdhsa_enable_private_segment 1
		.amdhsa_system_sgpr_workgroup_id_x 1
		.amdhsa_system_sgpr_workgroup_id_y 0
		.amdhsa_system_sgpr_workgroup_id_z 0
		.amdhsa_system_sgpr_workgroup_info 0
		.amdhsa_system_vgpr_workitem_id 0
		.amdhsa_next_free_vgpr 256
		.amdhsa_next_free_sgpr 60
		.amdhsa_reserve_vcc 1
		.amdhsa_float_round_mode_32 0
		.amdhsa_float_round_mode_16_64 0
		.amdhsa_float_denorm_mode_32 3
		.amdhsa_float_denorm_mode_16_64 3
		.amdhsa_dx10_clamp 1
		.amdhsa_ieee_mode 1
		.amdhsa_fp16_overflow 0
		.amdhsa_workgroup_processor_mode 1
		.amdhsa_memory_ordered 1
		.amdhsa_forward_progress 0
		.amdhsa_shared_vgpr_count 0
		.amdhsa_exception_fp_ieee_invalid_op 0
		.amdhsa_exception_fp_denorm_src 0
		.amdhsa_exception_fp_ieee_div_zero 0
		.amdhsa_exception_fp_ieee_overflow 0
		.amdhsa_exception_fp_ieee_underflow 0
		.amdhsa_exception_fp_ieee_inexact 0
		.amdhsa_exception_int_div_zero 0
	.end_amdhsa_kernel
	.text
.Lfunc_end0:
	.size	bluestein_single_fwd_len680_dim1_dp_op_CI_CI, .Lfunc_end0-bluestein_single_fwd_len680_dim1_dp_op_CI_CI
                                        ; -- End function
	.section	.AMDGPU.csdata,"",@progbits
; Kernel info:
; codeLenInByte = 28060
; NumSgprs: 62
; NumVgprs: 256
; ScratchSize: 476
; MemoryBound: 0
; FloatMode: 240
; IeeeMode: 1
; LDSByteSize: 32640 bytes/workgroup (compile time only)
; SGPRBlocks: 7
; VGPRBlocks: 31
; NumSGPRsForWavesPerEU: 62
; NumVGPRsForWavesPerEU: 256
; Occupancy: 5
; WaveLimiterHint : 1
; COMPUTE_PGM_RSRC2:SCRATCH_EN: 1
; COMPUTE_PGM_RSRC2:USER_SGPR: 15
; COMPUTE_PGM_RSRC2:TRAP_HANDLER: 0
; COMPUTE_PGM_RSRC2:TGID_X_EN: 1
; COMPUTE_PGM_RSRC2:TGID_Y_EN: 0
; COMPUTE_PGM_RSRC2:TGID_Z_EN: 0
; COMPUTE_PGM_RSRC2:TIDIG_COMP_CNT: 0
	.text
	.p2alignl 7, 3214868480
	.fill 96, 4, 3214868480
	.type	__hip_cuid_ada64d5c66077c59,@object ; @__hip_cuid_ada64d5c66077c59
	.section	.bss,"aw",@nobits
	.globl	__hip_cuid_ada64d5c66077c59
__hip_cuid_ada64d5c66077c59:
	.byte	0                               ; 0x0
	.size	__hip_cuid_ada64d5c66077c59, 1

	.ident	"AMD clang version 19.0.0git (https://github.com/RadeonOpenCompute/llvm-project roc-6.4.0 25133 c7fe45cf4b819c5991fe208aaa96edf142730f1d)"
	.section	".note.GNU-stack","",@progbits
	.addrsig
	.addrsig_sym __hip_cuid_ada64d5c66077c59
	.amdgpu_metadata
---
amdhsa.kernels:
  - .args:
      - .actual_access:  read_only
        .address_space:  global
        .offset:         0
        .size:           8
        .value_kind:     global_buffer
      - .actual_access:  read_only
        .address_space:  global
        .offset:         8
        .size:           8
        .value_kind:     global_buffer
      - .actual_access:  read_only
        .address_space:  global
        .offset:         16
        .size:           8
        .value_kind:     global_buffer
      - .actual_access:  read_only
        .address_space:  global
        .offset:         24
        .size:           8
        .value_kind:     global_buffer
      - .actual_access:  read_only
        .address_space:  global
        .offset:         32
        .size:           8
        .value_kind:     global_buffer
      - .offset:         40
        .size:           8
        .value_kind:     by_value
      - .address_space:  global
        .offset:         48
        .size:           8
        .value_kind:     global_buffer
      - .address_space:  global
        .offset:         56
        .size:           8
        .value_kind:     global_buffer
      - .address_space:  global
        .offset:         64
        .size:           8
        .value_kind:     global_buffer
      - .address_space:  global
        .offset:         72
        .size:           8
        .value_kind:     global_buffer
      - .offset:         80
        .size:           4
        .value_kind:     by_value
      - .address_space:  global
        .offset:         88
        .size:           8
        .value_kind:     global_buffer
      - .address_space:  global
        .offset:         96
        .size:           8
        .value_kind:     global_buffer
    .group_segment_fixed_size: 32640
    .kernarg_segment_align: 8
    .kernarg_segment_size: 104
    .language:       OpenCL C
    .language_version:
      - 2
      - 0
    .max_flat_workgroup_size: 204
    .name:           bluestein_single_fwd_len680_dim1_dp_op_CI_CI
    .private_segment_fixed_size: 476
    .sgpr_count:     62
    .sgpr_spill_count: 0
    .symbol:         bluestein_single_fwd_len680_dim1_dp_op_CI_CI.kd
    .uniform_work_group_size: 1
    .uses_dynamic_stack: false
    .vgpr_count:     256
    .vgpr_spill_count: 184
    .wavefront_size: 32
    .workgroup_processor_mode: 1
amdhsa.target:   amdgcn-amd-amdhsa--gfx1100
amdhsa.version:
  - 1
  - 2
...

	.end_amdgpu_metadata
